;; amdgpu-corpus repo=ROCm/rocFFT kind=compiled arch=gfx906 opt=O3
	.text
	.amdgcn_target "amdgcn-amd-amdhsa--gfx906"
	.amdhsa_code_object_version 6
	.protected	fft_rtc_back_len2023_factors_17_7_17_wgs_119_tpt_119_halfLds_sp_ip_CI_sbrr_dirReg ; -- Begin function fft_rtc_back_len2023_factors_17_7_17_wgs_119_tpt_119_halfLds_sp_ip_CI_sbrr_dirReg
	.globl	fft_rtc_back_len2023_factors_17_7_17_wgs_119_tpt_119_halfLds_sp_ip_CI_sbrr_dirReg
	.p2align	8
	.type	fft_rtc_back_len2023_factors_17_7_17_wgs_119_tpt_119_halfLds_sp_ip_CI_sbrr_dirReg,@function
fft_rtc_back_len2023_factors_17_7_17_wgs_119_tpt_119_halfLds_sp_ip_CI_sbrr_dirReg: ; @fft_rtc_back_len2023_factors_17_7_17_wgs_119_tpt_119_halfLds_sp_ip_CI_sbrr_dirReg
; %bb.0:
	s_load_dwordx2 s[14:15], s[4:5], 0x18
	s_load_dwordx4 s[8:11], s[4:5], 0x0
	s_load_dwordx2 s[12:13], s[4:5], 0x50
	v_mul_u32_u24_e32 v1, 0x227, v0
	v_add_u32_sdwa v5, s6, v1 dst_sel:DWORD dst_unused:UNUSED_PAD src0_sel:DWORD src1_sel:WORD_1
	s_waitcnt lgkmcnt(0)
	s_load_dwordx2 s[2:3], s[14:15], 0x0
	v_cmp_lt_u64_e64 s[0:1], s[10:11], 2
	v_mov_b32_e32 v3, 0
	v_mov_b32_e32 v1, 0
	;; [unrolled: 1-line block ×3, first 2 shown]
	s_and_b64 vcc, exec, s[0:1]
	v_mov_b32_e32 v2, 0
	s_cbranch_vccnz .LBB0_8
; %bb.1:
	s_load_dwordx2 s[0:1], s[4:5], 0x10
	s_add_u32 s6, s14, 8
	s_addc_u32 s7, s15, 0
	v_mov_b32_e32 v1, 0
	v_mov_b32_e32 v2, 0
	s_waitcnt lgkmcnt(0)
	s_add_u32 s16, s0, 8
	s_addc_u32 s17, s1, 0
	s_mov_b64 s[18:19], 1
.LBB0_2:                                ; =>This Inner Loop Header: Depth=1
	s_load_dwordx2 s[20:21], s[16:17], 0x0
                                        ; implicit-def: $vgpr7_vgpr8
	s_waitcnt lgkmcnt(0)
	v_or_b32_e32 v4, s21, v6
	v_cmp_ne_u64_e32 vcc, 0, v[3:4]
	s_and_saveexec_b64 s[0:1], vcc
	s_xor_b64 s[22:23], exec, s[0:1]
	s_cbranch_execz .LBB0_4
; %bb.3:                                ;   in Loop: Header=BB0_2 Depth=1
	v_cvt_f32_u32_e32 v4, s20
	v_cvt_f32_u32_e32 v7, s21
	s_sub_u32 s0, 0, s20
	s_subb_u32 s1, 0, s21
	v_mac_f32_e32 v4, 0x4f800000, v7
	v_rcp_f32_e32 v4, v4
	v_mul_f32_e32 v4, 0x5f7ffffc, v4
	v_mul_f32_e32 v7, 0x2f800000, v4
	v_trunc_f32_e32 v7, v7
	v_mac_f32_e32 v4, 0xcf800000, v7
	v_cvt_u32_f32_e32 v7, v7
	v_cvt_u32_f32_e32 v4, v4
	v_mul_lo_u32 v8, s0, v7
	v_mul_hi_u32 v9, s0, v4
	v_mul_lo_u32 v11, s1, v4
	v_mul_lo_u32 v10, s0, v4
	v_add_u32_e32 v8, v9, v8
	v_add_u32_e32 v8, v8, v11
	v_mul_hi_u32 v9, v4, v10
	v_mul_lo_u32 v11, v4, v8
	v_mul_hi_u32 v13, v4, v8
	v_mul_hi_u32 v12, v7, v10
	v_mul_lo_u32 v10, v7, v10
	v_mul_hi_u32 v14, v7, v8
	v_add_co_u32_e32 v9, vcc, v9, v11
	v_addc_co_u32_e32 v11, vcc, 0, v13, vcc
	v_mul_lo_u32 v8, v7, v8
	v_add_co_u32_e32 v9, vcc, v9, v10
	v_addc_co_u32_e32 v9, vcc, v11, v12, vcc
	v_addc_co_u32_e32 v10, vcc, 0, v14, vcc
	v_add_co_u32_e32 v8, vcc, v9, v8
	v_addc_co_u32_e32 v9, vcc, 0, v10, vcc
	v_add_co_u32_e32 v4, vcc, v4, v8
	v_addc_co_u32_e32 v7, vcc, v7, v9, vcc
	v_mul_lo_u32 v8, s0, v7
	v_mul_hi_u32 v9, s0, v4
	v_mul_lo_u32 v10, s1, v4
	v_mul_lo_u32 v11, s0, v4
	v_add_u32_e32 v8, v9, v8
	v_add_u32_e32 v8, v8, v10
	v_mul_lo_u32 v12, v4, v8
	v_mul_hi_u32 v13, v4, v11
	v_mul_hi_u32 v14, v4, v8
	;; [unrolled: 1-line block ×3, first 2 shown]
	v_mul_lo_u32 v11, v7, v11
	v_mul_hi_u32 v9, v7, v8
	v_add_co_u32_e32 v12, vcc, v13, v12
	v_addc_co_u32_e32 v13, vcc, 0, v14, vcc
	v_mul_lo_u32 v8, v7, v8
	v_add_co_u32_e32 v11, vcc, v12, v11
	v_addc_co_u32_e32 v10, vcc, v13, v10, vcc
	v_addc_co_u32_e32 v9, vcc, 0, v9, vcc
	v_add_co_u32_e32 v8, vcc, v10, v8
	v_addc_co_u32_e32 v9, vcc, 0, v9, vcc
	v_add_co_u32_e32 v4, vcc, v4, v8
	v_addc_co_u32_e32 v9, vcc, v7, v9, vcc
	v_mad_u64_u32 v[7:8], s[0:1], v5, v9, 0
	v_mul_hi_u32 v10, v5, v4
	v_add_co_u32_e32 v11, vcc, v10, v7
	v_addc_co_u32_e32 v12, vcc, 0, v8, vcc
	v_mad_u64_u32 v[7:8], s[0:1], v6, v4, 0
	v_mad_u64_u32 v[9:10], s[0:1], v6, v9, 0
	v_add_co_u32_e32 v4, vcc, v11, v7
	v_addc_co_u32_e32 v4, vcc, v12, v8, vcc
	v_addc_co_u32_e32 v7, vcc, 0, v10, vcc
	v_add_co_u32_e32 v4, vcc, v4, v9
	v_addc_co_u32_e32 v9, vcc, 0, v7, vcc
	v_mul_lo_u32 v10, s21, v4
	v_mul_lo_u32 v11, s20, v9
	v_mad_u64_u32 v[7:8], s[0:1], s20, v4, 0
	v_add3_u32 v8, v8, v11, v10
	v_sub_u32_e32 v10, v6, v8
	v_mov_b32_e32 v11, s21
	v_sub_co_u32_e32 v7, vcc, v5, v7
	v_subb_co_u32_e64 v10, s[0:1], v10, v11, vcc
	v_subrev_co_u32_e64 v11, s[0:1], s20, v7
	v_subbrev_co_u32_e64 v10, s[0:1], 0, v10, s[0:1]
	v_cmp_le_u32_e64 s[0:1], s21, v10
	v_cndmask_b32_e64 v12, 0, -1, s[0:1]
	v_cmp_le_u32_e64 s[0:1], s20, v11
	v_cndmask_b32_e64 v11, 0, -1, s[0:1]
	v_cmp_eq_u32_e64 s[0:1], s21, v10
	v_cndmask_b32_e64 v10, v12, v11, s[0:1]
	v_add_co_u32_e64 v11, s[0:1], 2, v4
	v_addc_co_u32_e64 v12, s[0:1], 0, v9, s[0:1]
	v_add_co_u32_e64 v13, s[0:1], 1, v4
	v_addc_co_u32_e64 v14, s[0:1], 0, v9, s[0:1]
	v_subb_co_u32_e32 v8, vcc, v6, v8, vcc
	v_cmp_ne_u32_e64 s[0:1], 0, v10
	v_cmp_le_u32_e32 vcc, s21, v8
	v_cndmask_b32_e64 v10, v14, v12, s[0:1]
	v_cndmask_b32_e64 v12, 0, -1, vcc
	v_cmp_le_u32_e32 vcc, s20, v7
	v_cndmask_b32_e64 v7, 0, -1, vcc
	v_cmp_eq_u32_e32 vcc, s21, v8
	v_cndmask_b32_e32 v7, v12, v7, vcc
	v_cmp_ne_u32_e32 vcc, 0, v7
	v_cndmask_b32_e64 v7, v13, v11, s[0:1]
	v_cndmask_b32_e32 v8, v9, v10, vcc
	v_cndmask_b32_e32 v7, v4, v7, vcc
.LBB0_4:                                ;   in Loop: Header=BB0_2 Depth=1
	s_andn2_saveexec_b64 s[0:1], s[22:23]
	s_cbranch_execz .LBB0_6
; %bb.5:                                ;   in Loop: Header=BB0_2 Depth=1
	v_cvt_f32_u32_e32 v4, s20
	s_sub_i32 s22, 0, s20
	v_rcp_iflag_f32_e32 v4, v4
	v_mul_f32_e32 v4, 0x4f7ffffe, v4
	v_cvt_u32_f32_e32 v4, v4
	v_mul_lo_u32 v7, s22, v4
	v_mul_hi_u32 v7, v4, v7
	v_add_u32_e32 v4, v4, v7
	v_mul_hi_u32 v4, v5, v4
	v_mul_lo_u32 v7, v4, s20
	v_add_u32_e32 v8, 1, v4
	v_sub_u32_e32 v7, v5, v7
	v_subrev_u32_e32 v9, s20, v7
	v_cmp_le_u32_e32 vcc, s20, v7
	v_cndmask_b32_e32 v7, v7, v9, vcc
	v_cndmask_b32_e32 v4, v4, v8, vcc
	v_add_u32_e32 v8, 1, v4
	v_cmp_le_u32_e32 vcc, s20, v7
	v_cndmask_b32_e32 v7, v4, v8, vcc
	v_mov_b32_e32 v8, v3
.LBB0_6:                                ;   in Loop: Header=BB0_2 Depth=1
	s_or_b64 exec, exec, s[0:1]
	v_mul_lo_u32 v4, v8, s20
	v_mul_lo_u32 v11, v7, s21
	v_mad_u64_u32 v[9:10], s[0:1], v7, s20, 0
	s_load_dwordx2 s[0:1], s[6:7], 0x0
	s_add_u32 s18, s18, 1
	v_add3_u32 v4, v10, v11, v4
	v_sub_co_u32_e32 v5, vcc, v5, v9
	v_subb_co_u32_e32 v4, vcc, v6, v4, vcc
	s_waitcnt lgkmcnt(0)
	v_mul_lo_u32 v4, s0, v4
	v_mul_lo_u32 v6, s1, v5
	v_mad_u64_u32 v[1:2], s[0:1], s0, v5, v[1:2]
	s_addc_u32 s19, s19, 0
	s_add_u32 s6, s6, 8
	v_add3_u32 v2, v6, v2, v4
	v_mov_b32_e32 v4, s10
	v_mov_b32_e32 v5, s11
	s_addc_u32 s7, s7, 0
	v_cmp_ge_u64_e32 vcc, s[18:19], v[4:5]
	s_add_u32 s16, s16, 8
	s_addc_u32 s17, s17, 0
	s_cbranch_vccnz .LBB0_9
; %bb.7:                                ;   in Loop: Header=BB0_2 Depth=1
	v_mov_b32_e32 v5, v7
	v_mov_b32_e32 v6, v8
	s_branch .LBB0_2
.LBB0_8:
	v_mov_b32_e32 v8, v6
	v_mov_b32_e32 v7, v5
.LBB0_9:
	s_lshl_b64 s[0:1], s[10:11], 3
	s_add_u32 s0, s14, s0
	s_addc_u32 s1, s15, s1
	s_load_dwordx2 s[6:7], s[0:1], 0x0
	s_load_dwordx2 s[10:11], s[4:5], 0x20
                                        ; implicit-def: $vgpr51
                                        ; implicit-def: $vgpr50
	s_waitcnt lgkmcnt(0)
	v_mad_u64_u32 v[1:2], s[0:1], s6, v7, v[1:2]
	s_mov_b32 s0, 0x226b903
	v_mul_lo_u32 v3, s6, v8
	v_mul_lo_u32 v4, s7, v7
	v_mul_hi_u32 v5, v0, s0
	v_cmp_gt_u64_e32 vcc, s[10:11], v[7:8]
	v_cmp_le_u64_e64 s[0:1], s[10:11], v[7:8]
	v_add3_u32 v2, v4, v2, v3
	v_mul_u32_u24_e32 v3, 0x77, v5
	v_sub_u32_e32 v49, v0, v3
                                        ; implicit-def: $sgpr6_sgpr7
                                        ; implicit-def: $sgpr10
	s_and_saveexec_b64 s[4:5], s[0:1]
	s_xor_b64 s[0:1], exec, s[4:5]
; %bb.10:
	v_add_u32_e32 v51, 0x77, v49
	v_add_u32_e32 v50, 0xee, v49
	s_mov_b32 s10, 0
	s_mov_b64 s[6:7], 0
; %bb.11:
	s_or_saveexec_b64 s[4:5], s[0:1]
	v_lshlrev_b64 v[0:1], 3, v[1:2]
	v_mov_b32_e32 v27, s7
	v_mov_b32_e32 v48, s10
	;; [unrolled: 1-line block ×3, first 2 shown]
                                        ; implicit-def: $vgpr33
                                        ; implicit-def: $vgpr29
                                        ; implicit-def: $vgpr23
                                        ; implicit-def: $vgpr19
                                        ; implicit-def: $vgpr15
                                        ; implicit-def: $vgpr11
                                        ; implicit-def: $vgpr7
                                        ; implicit-def: $vgpr3
                                        ; implicit-def: $vgpr5
                                        ; implicit-def: $vgpr13
                                        ; implicit-def: $vgpr25
                                        ; implicit-def: $vgpr31
                                        ; implicit-def: $vgpr35
                                        ; implicit-def: $vgpr21
                                        ; implicit-def: $vgpr17
                                        ; implicit-def: $vgpr9
	s_xor_b64 exec, exec, s[4:5]
	s_cbranch_execz .LBB0_13
; %bb.12:
	v_mad_u64_u32 v[2:3], s[0:1], s2, v49, 0
	v_add_u32_e32 v51, 0x77, v49
	v_mov_b32_e32 v6, s13
	v_mad_u64_u32 v[3:4], s[0:1], s3, v49, v[3:4]
	v_mad_u64_u32 v[4:5], s[0:1], s2, v51, 0
	v_add_co_u32_e64 v10, s[0:1], s12, v0
	v_addc_co_u32_e64 v11, s[0:1], v6, v1, s[0:1]
	v_mad_u64_u32 v[5:6], s[0:1], s3, v51, v[5:6]
	v_add_u32_e32 v50, 0xee, v49
	v_mad_u64_u32 v[6:7], s[0:1], s2, v50, 0
	v_lshlrev_b64 v[2:3], 3, v[2:3]
	v_mov_b32_e32 v48, v49
	v_add_co_u32_e64 v30, s[0:1], v10, v2
	v_addc_co_u32_e64 v31, s[0:1], v11, v3, s[0:1]
	v_lshlrev_b64 v[2:3], 3, v[4:5]
	v_mov_b32_e32 v4, v7
	v_mad_u64_u32 v[4:5], s[0:1], s3, v50, v[4:5]
	v_add_u32_e32 v5, 0x165, v49
	v_mad_u64_u32 v[8:9], s[0:1], s2, v5, 0
	v_add_co_u32_e64 v34, s[0:1], v10, v2
	v_mov_b32_e32 v7, v4
	v_mov_b32_e32 v4, v9
	v_addc_co_u32_e64 v35, s[0:1], v11, v3, s[0:1]
	v_lshlrev_b64 v[2:3], 3, v[6:7]
	v_mad_u64_u32 v[4:5], s[0:1], s3, v5, v[4:5]
	v_add_u32_e32 v7, 0x1dc, v49
	v_mad_u64_u32 v[5:6], s[0:1], s2, v7, 0
	v_add_co_u32_e64 v36, s[0:1], v10, v2
	v_mov_b32_e32 v9, v4
	v_mov_b32_e32 v4, v6
	v_addc_co_u32_e64 v37, s[0:1], v11, v3, s[0:1]
	v_lshlrev_b64 v[2:3], 3, v[8:9]
	v_mad_u64_u32 v[6:7], s[0:1], s3, v7, v[4:5]
	v_add_u32_e32 v9, 0x253, v49
	v_mad_u64_u32 v[7:8], s[0:1], s2, v9, 0
	v_add_co_u32_e64 v38, s[0:1], v10, v2
	v_mov_b32_e32 v4, v8
	v_addc_co_u32_e64 v39, s[0:1], v11, v3, s[0:1]
	v_lshlrev_b64 v[2:3], 3, v[5:6]
	v_mad_u64_u32 v[4:5], s[0:1], s3, v9, v[4:5]
	v_add_u32_e32 v9, 0x2ca, v49
	v_mad_u64_u32 v[5:6], s[0:1], s2, v9, 0
	v_add_co_u32_e64 v40, s[0:1], v10, v2
	v_mov_b32_e32 v8, v4
	v_mov_b32_e32 v4, v6
	v_addc_co_u32_e64 v41, s[0:1], v11, v3, s[0:1]
	v_lshlrev_b64 v[2:3], 3, v[7:8]
	v_mad_u64_u32 v[6:7], s[0:1], s3, v9, v[4:5]
	v_add_u32_e32 v9, 0x341, v49
	v_mad_u64_u32 v[7:8], s[0:1], s2, v9, 0
	v_add_co_u32_e64 v42, s[0:1], v10, v2
	;; [unrolled: 15-line block ×6, first 2 shown]
	v_mov_b32_e32 v4, v8
	v_addc_co_u32_e64 v63, s[0:1], v11, v3, s[0:1]
	v_lshlrev_b64 v[2:3], 3, v[5:6]
	v_mad_u64_u32 v[4:5], s[0:1], s3, v9, v[4:5]
	v_add_u32_e32 v9, 0x770, v49
	v_mad_u64_u32 v[5:6], s[0:1], s2, v9, 0
	v_add_co_u32_e64 v64, s[0:1], v10, v2
	v_mov_b32_e32 v8, v4
	v_mov_b32_e32 v4, v6
	v_addc_co_u32_e64 v65, s[0:1], v11, v3, s[0:1]
	v_lshlrev_b64 v[2:3], 3, v[7:8]
	v_mad_u64_u32 v[6:7], s[0:1], s3, v9, v[4:5]
	v_add_co_u32_e64 v66, s[0:1], v10, v2
	v_addc_co_u32_e64 v67, s[0:1], v11, v3, s[0:1]
	v_lshlrev_b64 v[2:3], 3, v[5:6]
	v_add_co_u32_e64 v68, s[0:1], v10, v2
	v_addc_co_u32_e64 v69, s[0:1], v11, v3, s[0:1]
	global_load_dwordx2 v[26:27], v[30:31], off
	global_load_dwordx2 v[32:33], v[34:35], off
	;; [unrolled: 1-line block ×15, first 2 shown]
                                        ; kill: killed $vgpr60 killed $vgpr61
                                        ; kill: killed $vgpr46 killed $vgpr47
                                        ; kill: killed $vgpr36 killed $vgpr37
                                        ; kill: killed $vgpr30 killed $vgpr31
                                        ; kill: killed $vgpr64 killed $vgpr65
                                        ; kill: killed $vgpr54 killed $vgpr55
                                        ; kill: killed $vgpr40 killed $vgpr41
                                        ; kill: killed $vgpr58 killed $vgpr59
                                        ; kill: killed $vgpr44 killed $vgpr45
                                        ; kill: killed $vgpr62 killed $vgpr63
                                        ; kill: killed $vgpr52 killed $vgpr53
                                        ; kill: killed $vgpr38 killed $vgpr39
                                        ; kill: killed $vgpr56 killed $vgpr57
                                        ; kill: killed $vgpr42 killed $vgpr43
                                        ; kill: killed $vgpr34 killed $vgpr35
	global_load_dwordx2 v[30:31], v[66:67], off
	global_load_dwordx2 v[34:35], v[68:69], off
.LBB0_13:
	s_or_b64 exec, exec, s[4:5]
	s_waitcnt vmcnt(0)
	v_sub_f32_e32 v38, v33, v35
	v_mul_f32_e32 v39, 0xbeb8f4ab, v38
	v_mul_f32_e32 v41, 0xbf2c7751, v38
	;; [unrolled: 1-line block ×8, first 2 shown]
	v_add_f32_e32 v37, v32, v34
	s_mov_b32 s14, 0x3f6eb680
	v_mov_b32_e32 v40, v39
	s_mov_b32 s10, 0x3f3d2fb0
	v_mov_b32_e32 v42, v41
	;; [unrolled: 2-line block ×8, first 2 shown]
	v_fmac_f32_e32 v40, 0x3f6eb680, v37
	v_fma_f32 v39, v37, s14, -v39
	v_fmac_f32_e32 v42, 0x3f3d2fb0, v37
	v_fma_f32 v41, v37, s10, -v41
	;; [unrolled: 2-line block ×8, first 2 shown]
	v_sub_f32_e32 v38, v29, v31
	v_add_f32_e32 v36, v32, v26
	v_add_f32_e32 v40, v40, v26
	;; [unrolled: 1-line block ×18, first 2 shown]
	v_mul_f32_e32 v58, 0xbf2c7751, v38
	v_mov_b32_e32 v59, v58
	v_fma_f32 v58, v37, s10, -v58
	v_fmac_f32_e32 v59, 0x3f3d2fb0, v37
	v_add_f32_e32 v39, v58, v39
	v_mul_f32_e32 v58, 0xbf7ee86f, v38
	v_add_f32_e32 v40, v59, v40
	v_mov_b32_e32 v59, v58
	v_fma_f32 v58, v37, s6, -v58
	v_fmac_f32_e32 v59, 0x3dbcf732, v37
	v_add_f32_e32 v41, v58, v41
	v_mul_f32_e32 v58, 0xbf4c4adb, v38
	v_add_f32_e32 v42, v59, v42
	v_mov_b32_e32 v59, v58
	v_fma_f32 v58, v37, s15, -v58
	v_fmac_f32_e32 v59, 0xbf1a4643, v37
	v_add_f32_e32 v43, v58, v43
	v_mul_f32_e32 v58, 0xbe3c28d5, v38
	v_add_f32_e32 v44, v59, v44
	v_mov_b32_e32 v59, v58
	v_fma_f32 v58, v37, s17, -v58
	v_fmac_f32_e32 v59, 0xbf7ba420, v37
	v_add_f32_e32 v45, v58, v45
	v_mul_f32_e32 v58, 0x3f06c442, v38
	v_add_f32_e32 v46, v59, v46
	v_mov_b32_e32 v59, v58
	v_fma_f32 v58, v37, s16, -v58
	v_fmac_f32_e32 v59, 0xbf59a7d5, v37
	v_add_f32_e32 v47, v58, v47
	v_mul_f32_e32 v58, 0x3f763a35, v38
	v_add_f32_e32 v52, v59, v52
	v_mov_b32_e32 v59, v58
	v_fma_f32 v58, v37, s11, -v58
	v_fmac_f32_e32 v59, 0xbe8c1d8e, v37
	v_add_f32_e32 v53, v58, v53
	v_mul_f32_e32 v58, 0x3f65296c, v38
	v_add_f32_e32 v54, v59, v54
	v_mov_b32_e32 v59, v58
	v_fma_f32 v58, v37, s7, -v58
	v_mul_f32_e32 v38, 0x3eb8f4ab, v38
	v_add_f32_e32 v55, v58, v55
	v_mov_b32_e32 v58, v38
	v_fmac_f32_e32 v59, 0x3ee437d1, v37
	v_fmac_f32_e32 v58, 0x3f6eb680, v37
	v_fma_f32 v37, v37, s14, -v38
	v_sub_f32_e32 v38, v23, v25
	v_add_f32_e32 v57, v58, v57
	v_add_f32_e32 v26, v37, v26
	v_add_f32_e32 v37, v22, v24
	v_mul_f32_e32 v58, 0xbf65296c, v38
	v_add_f32_e32 v56, v59, v56
	v_mov_b32_e32 v59, v58
	v_fma_f32 v58, v37, s7, -v58
	v_fmac_f32_e32 v59, 0x3ee437d1, v37
	v_add_f32_e32 v39, v58, v39
	v_mul_f32_e32 v58, 0xbf4c4adb, v38
	v_add_f32_e32 v40, v59, v40
	v_mov_b32_e32 v59, v58
	v_fma_f32 v58, v37, s15, -v58
	v_fmac_f32_e32 v59, 0xbf1a4643, v37
	v_add_f32_e32 v41, v58, v41
	v_mul_f32_e32 v58, 0x3e3c28d5, v38
	v_add_f32_e32 v42, v59, v42
	v_mov_b32_e32 v59, v58
	v_fma_f32 v58, v37, s17, -v58
	v_fmac_f32_e32 v59, 0xbf7ba420, v37
	v_add_f32_e32 v43, v58, v43
	v_mul_f32_e32 v58, 0x3f763a35, v38
	v_add_f32_e32 v44, v59, v44
	v_mov_b32_e32 v59, v58
	v_fma_f32 v58, v37, s11, -v58
	v_fmac_f32_e32 v59, 0xbe8c1d8e, v37
	v_add_f32_e32 v45, v58, v45
	v_mul_f32_e32 v58, 0x3f2c7751, v38
	v_add_f32_e32 v46, v59, v46
	v_mov_b32_e32 v59, v58
	v_fma_f32 v58, v37, s10, -v58
	v_fmac_f32_e32 v59, 0x3f3d2fb0, v37
	v_add_f32_e32 v47, v58, v47
	v_mul_f32_e32 v58, 0xbeb8f4ab, v38
	v_add_f32_e32 v52, v59, v52
	v_mov_b32_e32 v59, v58
	v_fma_f32 v58, v37, s14, -v58
	v_fmac_f32_e32 v59, 0x3f6eb680, v37
	v_add_f32_e32 v53, v58, v53
	v_mul_f32_e32 v58, 0xbf7ee86f, v38
	v_add_f32_e32 v54, v59, v54
	v_mov_b32_e32 v59, v58
	v_fma_f32 v58, v37, s6, -v58
	v_mul_f32_e32 v38, 0xbf06c442, v38
	v_add_f32_e32 v55, v58, v55
	v_mov_b32_e32 v58, v38
	v_fmac_f32_e32 v59, 0x3dbcf732, v37
	v_fmac_f32_e32 v58, 0xbf59a7d5, v37
	v_fma_f32 v37, v37, s16, -v38
	v_sub_f32_e32 v38, v19, v21
	v_add_f32_e32 v57, v58, v57
	v_add_f32_e32 v26, v37, v26
	v_add_f32_e32 v37, v18, v20
	v_mul_f32_e32 v58, 0xbf7ee86f, v38
	v_add_f32_e32 v56, v59, v56
	v_mov_b32_e32 v59, v58
	v_fma_f32 v58, v37, s6, -v58
	v_fmac_f32_e32 v59, 0x3dbcf732, v37
	v_add_f32_e32 v39, v58, v39
	v_mul_f32_e32 v58, 0xbe3c28d5, v38
	v_add_f32_e32 v40, v59, v40
	v_mov_b32_e32 v59, v58
	v_fma_f32 v58, v37, s17, -v58
	v_fmac_f32_e32 v59, 0xbf7ba420, v37
	v_add_f32_e32 v41, v58, v41
	v_mul_f32_e32 v58, 0x3f763a35, v38
	v_add_f32_e32 v42, v59, v42
	v_mov_b32_e32 v59, v58
	v_fma_f32 v58, v37, s11, -v58
	v_fmac_f32_e32 v59, 0xbe8c1d8e, v37
	v_add_f32_e32 v43, v58, v43
	v_mul_f32_e32 v58, 0x3eb8f4ab, v38
	v_add_f32_e32 v44, v59, v44
	v_mov_b32_e32 v59, v58
	v_fma_f32 v58, v37, s14, -v58
	v_fmac_f32_e32 v59, 0x3f6eb680, v37
	v_add_f32_e32 v45, v58, v45
	v_mul_f32_e32 v58, 0xbf65296c, v38
	v_add_f32_e32 v46, v59, v46
	v_mov_b32_e32 v59, v58
	v_fma_f32 v58, v37, s7, -v58
	v_fmac_f32_e32 v59, 0x3ee437d1, v37
	v_add_f32_e32 v47, v58, v47
	v_mul_f32_e32 v58, 0xbf06c442, v38
	v_add_f32_e32 v52, v59, v52
	v_mov_b32_e32 v59, v58
	v_fma_f32 v58, v37, s16, -v58
	v_fmac_f32_e32 v59, 0xbf59a7d5, v37
	v_add_f32_e32 v53, v58, v53
	v_mul_f32_e32 v58, 0x3f4c4adb, v38
	v_add_f32_e32 v54, v59, v54
	v_mov_b32_e32 v59, v58
	v_fma_f32 v58, v37, s15, -v58
	v_mul_f32_e32 v38, 0x3f2c7751, v38
	v_add_f32_e32 v55, v58, v55
	v_mov_b32_e32 v58, v38
	v_fmac_f32_e32 v59, 0xbf1a4643, v37
	v_fmac_f32_e32 v58, 0x3f3d2fb0, v37
	v_fma_f32 v37, v37, s10, -v38
	v_sub_f32_e32 v38, v15, v17
	v_add_f32_e32 v57, v58, v57
	v_add_f32_e32 v26, v37, v26
	v_add_f32_e32 v37, v14, v16
	v_mul_f32_e32 v58, 0xbf763a35, v38
	v_add_f32_e32 v56, v59, v56
	v_mov_b32_e32 v59, v58
	v_fma_f32 v58, v37, s11, -v58
	v_fmac_f32_e32 v59, 0xbe8c1d8e, v37
	v_add_f32_e32 v39, v58, v39
	v_mul_f32_e32 v58, 0x3f06c442, v38
	v_add_f32_e32 v40, v59, v40
	v_mov_b32_e32 v59, v58
	v_fma_f32 v58, v37, s16, -v58
	v_fmac_f32_e32 v59, 0xbf59a7d5, v37
	v_add_f32_e32 v41, v58, v41
	v_mul_f32_e32 v58, 0x3f2c7751, v38
	v_add_f32_e32 v42, v59, v42
	v_mov_b32_e32 v59, v58
	v_fma_f32 v58, v37, s10, -v58
	v_fmac_f32_e32 v59, 0x3f3d2fb0, v37
	v_add_f32_e32 v43, v58, v43
	v_mul_f32_e32 v58, 0xbf65296c, v38
	v_add_f32_e32 v44, v59, v44
	v_mov_b32_e32 v59, v58
	v_fma_f32 v58, v37, s7, -v58
	v_fmac_f32_e32 v59, 0x3ee437d1, v37
	v_add_f32_e32 v45, v58, v45
	v_mul_f32_e32 v58, 0xbe3c28d5, v38
	v_add_f32_e32 v46, v59, v46
	v_mov_b32_e32 v59, v58
	v_fma_f32 v58, v37, s17, -v58
	v_fmac_f32_e32 v59, 0xbf7ba420, v37
	v_add_f32_e32 v47, v58, v47
	v_mul_f32_e32 v58, 0x3f7ee86f, v38
	v_add_f32_e32 v52, v59, v52
	v_mov_b32_e32 v59, v58
	v_fma_f32 v58, v37, s6, -v58
	v_fmac_f32_e32 v59, 0x3dbcf732, v37
	v_add_f32_e32 v53, v58, v53
	v_mul_f32_e32 v58, 0xbeb8f4ab, v38
	v_add_f32_e32 v54, v59, v54
	v_mov_b32_e32 v59, v58
	v_fma_f32 v58, v37, s14, -v58
	v_mul_f32_e32 v38, 0xbf4c4adb, v38
	v_add_f32_e32 v55, v58, v55
	v_mov_b32_e32 v58, v38
	v_fmac_f32_e32 v59, 0x3f6eb680, v37
	v_fmac_f32_e32 v58, 0xbf1a4643, v37
	v_fma_f32 v37, v37, s15, -v38
	v_sub_f32_e32 v38, v11, v13
	v_add_f32_e32 v57, v58, v57
	v_add_f32_e32 v26, v37, v26
	v_add_f32_e32 v37, v10, v12
	v_mul_f32_e32 v58, 0xbf4c4adb, v38
	v_add_f32_e32 v56, v59, v56
	v_mov_b32_e32 v59, v58
	v_fma_f32 v58, v37, s15, -v58
	v_fmac_f32_e32 v59, 0xbf1a4643, v37
	v_add_f32_e32 v39, v58, v39
	v_mul_f32_e32 v58, 0x3f763a35, v38
	v_add_f32_e32 v40, v59, v40
	v_mov_b32_e32 v59, v58
	v_fma_f32 v58, v37, s11, -v58
	v_fmac_f32_e32 v59, 0xbe8c1d8e, v37
	v_add_f32_e32 v41, v58, v41
	v_mul_f32_e32 v58, 0xbeb8f4ab, v38
	v_add_f32_e32 v42, v59, v42
	v_mov_b32_e32 v59, v58
	v_fma_f32 v58, v37, s14, -v58
	v_fmac_f32_e32 v59, 0x3f6eb680, v37
	v_add_f32_e32 v43, v58, v43
	v_mul_f32_e32 v58, 0xbf06c442, v38
	v_add_f32_e32 v44, v59, v44
	v_mov_b32_e32 v59, v58
	v_fma_f32 v58, v37, s16, -v58
	v_fmac_f32_e32 v59, 0xbf59a7d5, v37
	v_add_f32_e32 v45, v58, v45
	v_mul_f32_e32 v58, 0x3f7ee86f, v38
	v_add_f32_e32 v46, v59, v46
	v_mov_b32_e32 v59, v58
	v_fma_f32 v58, v37, s6, -v58
	v_fmac_f32_e32 v59, 0x3dbcf732, v37
	v_add_f32_e32 v47, v58, v47
	v_mul_f32_e32 v58, 0xbf2c7751, v38
	v_add_f32_e32 v52, v59, v52
	v_mov_b32_e32 v59, v58
	v_fma_f32 v58, v37, s10, -v58
	v_fmac_f32_e32 v59, 0x3f3d2fb0, v37
	v_add_f32_e32 v53, v58, v53
	v_mul_f32_e32 v58, 0xbe3c28d5, v38
	v_add_f32_e32 v54, v59, v54
	v_mov_b32_e32 v59, v58
	v_fma_f32 v58, v37, s17, -v58
	v_mul_f32_e32 v38, 0x3f65296c, v38
	v_add_f32_e32 v55, v58, v55
	v_mov_b32_e32 v58, v38
	v_fmac_f32_e32 v59, 0xbf7ba420, v37
	v_fmac_f32_e32 v58, 0x3ee437d1, v37
	v_fma_f32 v37, v37, s7, -v38
	v_sub_f32_e32 v38, v7, v9
	v_add_f32_e32 v57, v58, v57
	v_add_f32_e32 v26, v37, v26
	v_add_f32_e32 v37, v6, v8
	v_mul_f32_e32 v58, 0xbf06c442, v38
	v_add_f32_e32 v56, v59, v56
	v_mov_b32_e32 v59, v58
	v_fma_f32 v58, v37, s16, -v58
	v_fmac_f32_e32 v59, 0xbf59a7d5, v37
	v_add_f32_e32 v39, v58, v39
	v_mul_f32_e32 v58, 0x3f65296c, v38
	v_add_f32_e32 v40, v59, v40
	v_mov_b32_e32 v59, v58
	v_fma_f32 v58, v37, s7, -v58
	v_fmac_f32_e32 v59, 0x3ee437d1, v37
	v_add_f32_e32 v41, v58, v41
	v_mul_f32_e32 v58, 0xbf7ee86f, v38
	v_add_f32_e32 v42, v59, v42
	v_mov_b32_e32 v59, v58
	v_fma_f32 v58, v37, s6, -v58
	v_fmac_f32_e32 v59, 0x3dbcf732, v37
	v_add_f32_e32 v43, v58, v43
	v_mul_f32_e32 v58, 0x3f4c4adb, v38
	v_add_f32_e32 v44, v59, v44
	v_mov_b32_e32 v59, v58
	v_fma_f32 v58, v37, s15, -v58
	v_fmac_f32_e32 v59, 0xbf1a4643, v37
	v_add_f32_e32 v45, v58, v45
	v_mul_f32_e32 v58, 0xbeb8f4ab, v38
	v_add_f32_e32 v46, v59, v46
	v_mov_b32_e32 v59, v58
	v_fmac_f32_e32 v59, 0x3f6eb680, v37
	v_add_f32_e32 v59, v59, v52
	v_fma_f32 v52, v37, s14, -v58
	v_add_f32_e32 v47, v52, v47
	v_mul_f32_e32 v52, 0xbe3c28d5, v38
	v_mov_b32_e32 v58, v52
	v_fma_f32 v52, v37, s17, -v52
	v_add_f32_e32 v60, v52, v53
	v_mul_f32_e32 v52, 0x3f2c7751, v38
	v_mov_b32_e32 v53, v52
	v_fma_f32 v52, v37, s10, -v52
	v_mul_f32_e32 v38, 0xbf763a35, v38
	v_add_f32_e32 v55, v52, v55
	v_mov_b32_e32 v52, v38
	v_fmac_f32_e32 v58, 0xbf7ba420, v37
	v_fmac_f32_e32 v53, 0x3f3d2fb0, v37
	;; [unrolled: 1-line block ×3, first 2 shown]
	v_fma_f32 v37, v37, s11, -v38
	v_sub_f32_e32 v38, v3, v5
	v_add_f32_e32 v57, v52, v57
	v_mul_f32_e32 v52, 0xbe3c28d5, v38
	v_add_f32_e32 v56, v53, v56
	v_add_f32_e32 v26, v37, v26
	;; [unrolled: 1-line block ×3, first 2 shown]
	v_mov_b32_e32 v53, v52
	v_fmac_f32_e32 v53, 0xbf7ba420, v37
	v_fma_f32 v52, v37, s17, -v52
	v_add_f32_e32 v36, v28, v36
	v_add_f32_e32 v40, v53, v40
	;; [unrolled: 1-line block ×3, first 2 shown]
	v_mul_f32_e32 v39, 0x3eb8f4ab, v38
	v_add_f32_e32 v36, v22, v36
	v_mov_b32_e32 v52, v39
	v_fma_f32 v39, v37, s14, -v39
	v_add_f32_e32 v36, v18, v36
	v_add_f32_e32 v58, v58, v54
	;; [unrolled: 1-line block ×3, first 2 shown]
	v_mul_f32_e32 v39, 0xbf06c442, v38
	v_add_f32_e32 v36, v14, v36
	v_fmac_f32_e32 v52, 0x3f6eb680, v37
	v_mov_b32_e32 v41, v39
	v_fma_f32 v39, v37, s16, -v39
	v_add_f32_e32 v36, v10, v36
	v_add_f32_e32 v42, v52, v42
	;; [unrolled: 1-line block ×3, first 2 shown]
	v_mul_f32_e32 v39, 0x3f2c7751, v38
	v_add_f32_e32 v36, v6, v36
	v_fmac_f32_e32 v41, 0xbf59a7d5, v37
	v_mov_b32_e32 v43, v39
	v_add_f32_e32 v36, v2, v36
	v_add_f32_e32 v41, v41, v44
	v_fmac_f32_e32 v43, 0x3f3d2fb0, v37
	v_fma_f32 v39, v37, s10, -v39
	v_mul_f32_e32 v44, 0xbf4c4adb, v38
	v_add_f32_e32 v36, v4, v36
	v_add_f32_e32 v43, v43, v46
	v_add_f32_e32 v39, v39, v45
	v_mov_b32_e32 v45, v44
	v_fma_f32 v44, v37, s15, -v44
	v_mul_f32_e32 v46, 0x3f65296c, v38
	v_add_f32_e32 v36, v8, v36
	v_add_f32_e32 v44, v44, v47
	v_mov_b32_e32 v47, v46
	v_add_f32_e32 v36, v12, v36
	v_fmac_f32_e32 v47, 0x3ee437d1, v37
	v_add_f32_e32 v36, v16, v36
	v_fmac_f32_e32 v45, 0xbf1a4643, v37
	v_add_f32_e32 v47, v47, v58
	v_mul_f32_e32 v58, 0xbf763a35, v38
	v_add_f32_e32 v36, v20, v36
	v_add_f32_e32 v45, v45, v59
	v_mov_b32_e32 v59, v58
	v_fma_f32 v58, v37, s11, -v58
	v_mul_f32_e32 v38, 0x3f7ee86f, v38
	v_add_f32_e32 v36, v24, v36
	v_add_f32_e32 v55, v58, v55
	v_mov_b32_e32 v58, v38
	v_add_f32_e32 v36, v30, v36
	v_fma_f32 v46, v37, s7, -v46
	v_fmac_f32_e32 v59, 0xbe8c1d8e, v37
	v_fmac_f32_e32 v58, 0x3dbcf732, v37
	v_fma_f32 v37, v37, s6, -v38
	s_movk_i32 s0, 0x44
	v_add_f32_e32 v36, v34, v36
	v_add_f32_e32 v58, v58, v57
	;; [unrolled: 1-line block ×3, first 2 shown]
	v_mad_u32_u24 v57, v49, s0, 0
	v_add_f32_e32 v46, v46, v60
	v_add_f32_e32 v56, v59, v56
	ds_write2_b32 v57, v36, v40 offset1:1
	ds_write2_b32 v57, v42, v41 offset0:2 offset1:3
	ds_write2_b32 v57, v43, v45 offset0:4 offset1:5
	;; [unrolled: 1-line block ×7, first 2 shown]
	ds_write_b32 v57, v53 offset:64
	v_lshlrev_b32_e32 v26, 6, v49
	v_sub_u32_e32 v26, v57, v26
	v_add_u32_e32 v64, 0x400, v26
	v_add_u32_e32 v65, 0x800, v26
	;; [unrolled: 1-line block ×6, first 2 shown]
	s_waitcnt lgkmcnt(0)
	s_barrier
	ds_read2_b32 v[36:37], v64 offset0:33 offset1:152
	ds_read2_b32 v[38:39], v65 offset0:66 offset1:185
	;; [unrolled: 1-line block ×6, first 2 shown]
	v_lshl_add_u32 v55, v51, 2, 0
	ds_read_b32 v59, v26
	ds_read_b32 v58, v55
	v_cmp_gt_u32_e64 s[0:1], 51, v49
	v_lshl_add_u32 v56, v50, 2, 0
                                        ; implicit-def: $vgpr62
                                        ; implicit-def: $vgpr60
                                        ; implicit-def: $vgpr61
                                        ; implicit-def: $vgpr63
	s_and_saveexec_b64 s[4:5], s[0:1]
	s_cbranch_execz .LBB0_15
; %bb.14:
	ds_read_b32 v54, v26 offset:2108
	ds_read_b32 v53, v26 offset:3264
	;; [unrolled: 1-line block ×5, first 2 shown]
	ds_read_b32 v52, v56
	ds_read_b32 v60, v26 offset:7888
.LBB0_15:
	s_or_b64 exec, exec, s[4:5]
	v_add_f32_e32 v70, v33, v27
	v_add_f32_e32 v70, v29, v70
	v_add_f32_e32 v70, v23, v70
	v_add_f32_e32 v70, v19, v70
	v_add_f32_e32 v70, v15, v70
	v_add_f32_e32 v70, v11, v70
	v_add_f32_e32 v70, v7, v70
	v_add_f32_e32 v70, v3, v70
	v_add_f32_e32 v70, v5, v70
	v_add_f32_e32 v70, v9, v70
	v_add_f32_e32 v70, v13, v70
	v_add_f32_e32 v70, v17, v70
	v_add_f32_e32 v70, v21, v70
	v_add_f32_e32 v70, v25, v70
	v_sub_f32_e32 v32, v32, v34
	v_add_f32_e32 v70, v31, v70
	v_add_f32_e32 v33, v33, v35
	v_mul_f32_e32 v34, 0xbeb8f4ab, v32
	v_mul_f32_e32 v71, 0xbf2c7751, v32
	;; [unrolled: 1-line block ×8, first 2 shown]
	v_sub_f32_e32 v28, v28, v30
	v_add_f32_e32 v70, v35, v70
	v_fma_f32 v35, v33, s14, -v34
	v_fmac_f32_e32 v34, 0x3f6eb680, v33
	v_fma_f32 v72, v33, s10, -v71
	v_fmac_f32_e32 v71, 0x3f3d2fb0, v33
	;; [unrolled: 2-line block ×8, first 2 shown]
	v_add_f32_e32 v29, v29, v31
	v_mul_f32_e32 v30, 0xbf2c7751, v28
	v_add_f32_e32 v35, v35, v27
	v_add_f32_e32 v34, v34, v27
	;; [unrolled: 1-line block ×16, first 2 shown]
	v_fma_f32 v31, v29, s10, -v30
	v_fmac_f32_e32 v30, 0x3f3d2fb0, v29
	v_mul_f32_e32 v32, 0xbf7ee86f, v28
	v_add_f32_e32 v30, v30, v34
	v_fma_f32 v33, v29, s6, -v32
	v_fmac_f32_e32 v32, 0x3dbcf732, v29
	v_mul_f32_e32 v34, 0xbf4c4adb, v28
	v_add_f32_e32 v31, v31, v35
	v_add_f32_e32 v32, v32, v71
	v_fma_f32 v35, v29, s15, -v34
	v_fmac_f32_e32 v34, 0xbf1a4643, v29
	v_mul_f32_e32 v71, 0xbe3c28d5, v28
	v_add_f32_e32 v33, v33, v72
	;; [unrolled: 5-line block ×4, first 2 shown]
	v_add_f32_e32 v73, v73, v77
	v_fma_f32 v76, v29, s11, -v75
	v_fmac_f32_e32 v75, 0xbe8c1d8e, v29
	v_mul_f32_e32 v77, 0x3f65296c, v28
	v_mul_f32_e32 v28, 0x3eb8f4ab, v28
	v_sub_f32_e32 v22, v22, v24
	v_add_f32_e32 v75, v75, v79
	v_fma_f32 v79, v29, s14, -v28
	v_fmac_f32_e32 v28, 0x3f6eb680, v29
	v_add_f32_e32 v23, v23, v25
	v_mul_f32_e32 v24, 0xbf65296c, v22
	v_add_f32_e32 v27, v28, v27
	v_fma_f32 v25, v23, s7, -v24
	v_fmac_f32_e32 v24, 0x3ee437d1, v23
	v_mul_f32_e32 v28, 0xbf4c4adb, v22
	v_add_f32_e32 v74, v74, v78
	v_fma_f32 v78, v29, s7, -v77
	v_fmac_f32_e32 v77, 0x3ee437d1, v29
	v_add_f32_e32 v24, v24, v30
	v_fma_f32 v29, v23, s15, -v28
	v_fmac_f32_e32 v28, 0xbf1a4643, v23
	v_mul_f32_e32 v30, 0x3e3c28d5, v22
	v_add_f32_e32 v25, v25, v31
	v_add_f32_e32 v28, v28, v32
	v_fma_f32 v31, v23, s17, -v30
	v_fmac_f32_e32 v30, 0xbf7ba420, v23
	v_mul_f32_e32 v32, 0x3f763a35, v22
	v_add_f32_e32 v29, v29, v33
	v_add_f32_e32 v30, v30, v34
	v_fma_f32 v33, v23, s11, -v32
	v_fmac_f32_e32 v32, 0xbe8c1d8e, v23
	v_mul_f32_e32 v34, 0x3f2c7751, v22
	v_add_f32_e32 v31, v31, v35
	v_add_f32_e32 v32, v32, v71
	v_fma_f32 v35, v23, s10, -v34
	v_fmac_f32_e32 v34, 0x3f3d2fb0, v23
	v_mul_f32_e32 v71, 0xbeb8f4ab, v22
	v_sub_f32_e32 v18, v18, v20
	v_add_f32_e32 v33, v33, v72
	v_add_f32_e32 v34, v34, v73
	v_fma_f32 v72, v23, s14, -v71
	v_fmac_f32_e32 v71, 0x3f6eb680, v23
	v_mul_f32_e32 v73, 0xbf7ee86f, v22
	v_mul_f32_e32 v22, 0xbf06c442, v22
	v_add_f32_e32 v19, v19, v21
	v_mul_f32_e32 v20, 0xbf7ee86f, v18
	v_add_f32_e32 v35, v35, v74
	v_add_f32_e32 v71, v71, v75
	v_fma_f32 v74, v23, s6, -v73
	v_fmac_f32_e32 v73, 0x3dbcf732, v23
	v_fma_f32 v75, v23, s16, -v22
	v_fmac_f32_e32 v22, 0xbf59a7d5, v23
	v_fma_f32 v21, v19, s6, -v20
	v_fmac_f32_e32 v20, 0x3dbcf732, v19
	v_mul_f32_e32 v23, 0xbe3c28d5, v18
	v_add_f32_e32 v21, v21, v25
	v_add_f32_e32 v20, v20, v24
	v_fma_f32 v24, v19, s17, -v23
	v_fmac_f32_e32 v23, 0xbf7ba420, v19
	v_mul_f32_e32 v25, 0x3f763a35, v18
	v_add_f32_e32 v22, v22, v27
	v_add_f32_e32 v23, v23, v28
	v_fma_f32 v27, v19, s11, -v25
	v_fmac_f32_e32 v25, 0xbe8c1d8e, v19
	v_mul_f32_e32 v28, 0x3eb8f4ab, v18
	v_add_f32_e32 v24, v24, v29
	v_add_f32_e32 v25, v25, v30
	v_fma_f32 v29, v19, s14, -v28
	v_fmac_f32_e32 v28, 0x3f6eb680, v19
	v_mul_f32_e32 v30, 0xbf65296c, v18
	v_add_f32_e32 v27, v27, v31
	v_add_f32_e32 v28, v28, v32
	v_fma_f32 v31, v19, s7, -v30
	v_fmac_f32_e32 v30, 0x3ee437d1, v19
	v_mul_f32_e32 v32, 0xbf06c442, v18
	v_sub_f32_e32 v14, v14, v16
	v_add_f32_e32 v29, v29, v33
	v_add_f32_e32 v30, v30, v34
	v_fma_f32 v33, v19, s16, -v32
	v_fmac_f32_e32 v32, 0xbf59a7d5, v19
	v_mul_f32_e32 v34, 0x3f4c4adb, v18
	v_mul_f32_e32 v18, 0x3f2c7751, v18
	v_add_f32_e32 v15, v15, v17
	v_mul_f32_e32 v16, 0xbf763a35, v14
	v_add_f32_e32 v31, v31, v35
	v_add_f32_e32 v32, v32, v71
	v_fma_f32 v35, v19, s15, -v34
	v_fmac_f32_e32 v34, 0xbf1a4643, v19
	v_fma_f32 v71, v19, s10, -v18
	v_fmac_f32_e32 v18, 0x3f3d2fb0, v19
	v_fma_f32 v17, v15, s11, -v16
	v_fmac_f32_e32 v16, 0xbe8c1d8e, v15
	v_mul_f32_e32 v19, 0x3f06c442, v14
	v_add_f32_e32 v17, v17, v21
	;; [unrolled: 38-line block ×4, first 2 shown]
	v_fma_f32 v12, v7, s7, -v11
	v_fmac_f32_e32 v11, 0x3ee437d1, v7
	v_add_f32_e32 v9, v9, v13
	v_add_f32_e32 v11, v11, v15
	v_mul_f32_e32 v13, 0xbf7ee86f, v6
	v_mul_f32_e32 v15, 0x3f4c4adb, v6
	v_add_f32_e32 v10, v10, v14
	v_add_f32_e32 v12, v12, v16
	v_fma_f32 v14, v7, s6, -v13
	v_fmac_f32_e32 v13, 0x3dbcf732, v7
	v_fma_f32 v16, v7, s15, -v15
	v_add_f32_e32 v13, v13, v17
	v_add_f32_e32 v17, v16, v20
	v_mul_f32_e32 v16, 0xbeb8f4ab, v6
	v_add_f32_e32 v77, v77, v81
	v_add_f32_e32 v14, v14, v18
	v_fmac_f32_e32 v15, 0xbf1a4643, v7
	v_fma_f32 v18, v7, s14, -v16
	v_fmac_f32_e32 v16, 0x3f6eb680, v7
	v_add_f32_e32 v76, v76, v80
	v_add_f32_e32 v78, v78, v82
	v_add_f32_e32 v73, v73, v77
	v_add_f32_e32 v15, v15, v19
	v_add_f32_e32 v19, v16, v21
	v_mul_f32_e32 v16, 0xbe3c28d5, v6
	v_sub_f32_e32 v2, v2, v4
	v_add_f32_e32 v72, v72, v76
	v_add_f32_e32 v74, v74, v78
	;; [unrolled: 1-line block ×3, first 2 shown]
	v_fma_f32 v20, v7, s17, -v16
	v_fmac_f32_e32 v16, 0xbf7ba420, v7
	v_add_f32_e32 v3, v3, v5
	v_mul_f32_e32 v4, 0xbe3c28d5, v2
	v_add_f32_e32 v79, v79, v83
	v_add_f32_e32 v33, v33, v72
	;; [unrolled: 1-line block ×5, first 2 shown]
	v_mul_f32_e32 v16, 0x3f2c7751, v6
	v_fma_f32 v5, v3, s17, -v4
	v_fmac_f32_e32 v4, 0xbf7ba420, v3
	v_add_f32_e32 v75, v75, v79
	v_add_f32_e32 v29, v29, v33
	;; [unrolled: 1-line block ×5, first 2 shown]
	v_fma_f32 v22, v7, s10, -v16
	v_fmac_f32_e32 v16, 0x3f3d2fb0, v7
	v_mul_f32_e32 v6, 0xbf763a35, v6
	v_add_f32_e32 v23, v4, v8
	v_mul_f32_e32 v4, 0x3eb8f4ab, v2
	v_add_f32_e32 v71, v71, v75
	v_add_f32_e32 v24, v24, v29
	;; [unrolled: 1-line block ×4, first 2 shown]
	v_fma_f32 v16, v7, s11, -v6
	v_fmac_f32_e32 v6, 0xbe8c1d8e, v7
	v_fma_f32 v7, v3, s14, -v4
	v_fmac_f32_e32 v4, 0x3f6eb680, v3
	v_add_f32_e32 v32, v32, v71
	v_add_f32_e32 v20, v20, v24
	;; [unrolled: 1-line block ×4, first 2 shown]
	v_mul_f32_e32 v4, 0xbf06c442, v2
	v_add_f32_e32 v28, v28, v32
	v_fma_f32 v8, v3, s16, -v4
	v_fmac_f32_e32 v4, 0xbf59a7d5, v3
	v_add_f32_e32 v27, v16, v28
	v_add_f32_e32 v16, v4, v13
	v_mul_f32_e32 v4, 0x3f2c7751, v2
	v_add_f32_e32 v6, v6, v10
	v_add_f32_e32 v5, v5, v9
	;; [unrolled: 1-line block ×4, first 2 shown]
	v_fma_f32 v9, v3, s10, -v4
	v_fmac_f32_e32 v4, 0x3f3d2fb0, v3
	v_mul_f32_e32 v10, 0xbf4c4adb, v2
	v_mul_f32_e32 v12, 0x3f65296c, v2
	;; [unrolled: 1-line block ×4, first 2 shown]
	v_add_f32_e32 v9, v9, v17
	v_add_f32_e32 v4, v4, v15
	v_fma_f32 v11, v3, s15, -v10
	v_fmac_f32_e32 v10, 0xbf1a4643, v3
	v_fma_f32 v13, v3, s7, -v12
	v_fmac_f32_e32 v12, 0x3ee437d1, v3
	;; [unrolled: 2-line block ×4, first 2 shown]
	v_add_f32_e32 v11, v11, v18
	v_add_f32_e32 v10, v10, v19
	v_add_f32_e32 v13, v13, v20
	v_add_f32_e32 v12, v12, v21
	v_add_f32_e32 v15, v15, v24
	v_add_f32_e32 v14, v14, v25
	v_add_f32_e32 v2, v2, v6
	v_add_f32_e32 v17, v17, v27
	s_waitcnt lgkmcnt(0)
	s_barrier
	ds_write2_b32 v57, v70, v5 offset1:1
	ds_write2_b32 v57, v7, v8 offset0:2 offset1:3
	ds_write2_b32 v57, v9, v11 offset0:4 offset1:5
	;; [unrolled: 1-line block ×7, first 2 shown]
	ds_write_b32 v57, v23 offset:64
	s_waitcnt lgkmcnt(0)
	s_barrier
	ds_read2_b32 v[12:13], v64 offset0:33 offset1:152
	ds_read2_b32 v[10:11], v65 offset0:66 offset1:185
	;; [unrolled: 1-line block ×6, first 2 shown]
	ds_read_b32 v15, v26
	ds_read_b32 v14, v55
                                        ; implicit-def: $vgpr27
                                        ; implicit-def: $vgpr31
                                        ; implicit-def: $vgpr29
                                        ; implicit-def: $vgpr24
	s_and_saveexec_b64 s[4:5], s[0:1]
	s_cbranch_execz .LBB0_17
; %bb.16:
	ds_read_b32 v22, v26 offset:2108
	ds_read_b32 v23, v26 offset:3264
	;; [unrolled: 1-line block ×5, first 2 shown]
	ds_read_b32 v16, v56
	ds_read_b32 v31, v26 offset:7888
.LBB0_17:
	s_or_b64 exec, exec, s[4:5]
	s_movk_i32 s4, 0xf1
	v_mul_lo_u16_sdwa v17, v49, s4 dst_sel:DWORD dst_unused:UNUSED_PAD src0_sel:BYTE_0 src1_sel:DWORD
	v_mul_lo_u16_sdwa v19, v51, s4 dst_sel:DWORD dst_unused:UNUSED_PAD src0_sel:BYTE_0 src1_sel:DWORD
	v_lshrrev_b16_e32 v104, 12, v17
	v_lshrrev_b16_e32 v106, 12, v19
	v_mul_lo_u16_e32 v17, 17, v104
	v_mul_lo_u16_e32 v19, 17, v106
	v_sub_u16_e32 v105, v49, v17
	v_mov_b32_e32 v17, 6
	v_sub_u16_e32 v107, v51, v19
	v_mul_u32_u24_sdwa v18, v105, v17 dst_sel:DWORD dst_unused:UNUSED_PAD src0_sel:BYTE_0 src1_sel:DWORD
	v_mul_u32_u24_sdwa v17, v107, v17 dst_sel:DWORD dst_unused:UNUSED_PAD src0_sel:BYTE_0 src1_sel:DWORD
	v_lshlrev_b32_e32 v18, 3, v18
	v_lshlrev_b32_e32 v17, 3, v17
	s_mov_b32 s4, 0xf0f1
	global_load_dwordx4 v[68:71], v18, s[8:9]
	global_load_dwordx4 v[72:75], v18, s[8:9] offset:16
	global_load_dwordx4 v[76:79], v18, s[8:9] offset:32
	global_load_dwordx4 v[80:83], v17, s[8:9]
	global_load_dwordx4 v[84:87], v17, s[8:9] offset:32
	global_load_dwordx4 v[88:91], v17, s[8:9] offset:16
	v_mul_u32_u24_sdwa v17, v50, s4 dst_sel:DWORD dst_unused:UNUSED_PAD src0_sel:WORD_0 src1_sel:DWORD
	v_lshrrev_b32_e32 v17, 20, v17
	v_mul_lo_u16_e32 v18, 17, v17
	v_sub_u16_e32 v108, v50, v18
	v_mul_u32_u24_e32 v18, 6, v108
	v_lshlrev_b32_e32 v18, 3, v18
	global_load_dwordx4 v[92:95], v18, s[8:9]
	global_load_dwordx4 v[96:99], v18, s[8:9] offset:16
	global_load_dwordx4 v[100:103], v18, s[8:9] offset:32
	s_mov_b32 s6, 0xbf5ff5aa
	s_mov_b32 s7, 0x3f3bfb3b
	;; [unrolled: 1-line block ×4, first 2 shown]
	s_waitcnt vmcnt(0) lgkmcnt(0)
	s_barrier
	v_mul_f32_e32 v51, v12, v69
	v_mul_f32_e32 v25, v36, v69
	;; [unrolled: 1-line block ×12, first 2 shown]
	v_fmac_f32_e32 v57, v38, v70
	v_fma_f32 v38, v6, v74, -v69
	v_fma_f32 v6, v9, v88, -v79
	v_mul_f32_e32 v9, v62, v99
	v_mul_f32_e32 v66, v4, v77
	v_fma_f32 v12, v12, v68, -v25
	v_mul_f32_e32 v25, v27, v99
	v_fma_f32 v27, v27, v98, -v9
	v_mul_f32_e32 v9, v61, v101
	v_mul_f32_e32 v75, v37, v81
	v_fmac_f32_e32 v51, v36, v68
	v_fma_f32 v10, v10, v70, -v28
	v_fmac_f32_e32 v66, v44, v76
	v_fmac_f32_e32 v67, v46, v78
	v_mul_f32_e32 v28, v29, v101
	v_fma_f32 v29, v29, v100, -v9
	v_mul_f32_e32 v9, v60, v103
	v_mul_f32_e32 v71, v44, v77
	;; [unrolled: 1-line block ×3, first 2 shown]
	v_fmac_f32_e32 v64, v40, v72
	v_fma_f32 v8, v8, v72, -v30
	v_fmac_f32_e32 v65, v42, v74
	v_fma_f32 v42, v2, v78, -v73
	v_fma_f32 v2, v13, v80, -v75
	v_mul_f32_e32 v30, v31, v103
	v_fma_f32 v31, v31, v102, -v9
	v_add_f32_e32 v9, v51, v67
	v_add_f32_e32 v13, v57, v66
	v_mul_f32_e32 v32, v11, v83
	v_mul_f32_e32 v34, v7, v91
	v_fma_f32 v40, v4, v76, -v71
	v_fmac_f32_e32 v18, v37, v80
	v_fmac_f32_e32 v33, v41, v88
	v_add_f32_e32 v37, v64, v65
	v_add_f32_e32 v41, v13, v9
	v_mul_f32_e32 v77, v39, v83
	v_mul_f32_e32 v81, v43, v91
	;; [unrolled: 1-line block ×3, first 2 shown]
	v_fmac_f32_e32 v32, v39, v82
	v_fmac_f32_e32 v34, v43, v90
	v_sub_f32_e32 v36, v10, v40
	v_sub_f32_e32 v39, v38, v8
	;; [unrolled: 1-line block ×5, first 2 shown]
	v_add_f32_e32 v37, v37, v41
	v_mul_f32_e32 v83, v45, v85
	v_mul_f32_e32 v50, v3, v87
	v_fma_f32 v4, v11, v82, -v77
	v_fmac_f32_e32 v35, v45, v84
	v_sub_f32_e32 v11, v12, v42
	v_add_f32_e32 v44, v39, v36
	v_sub_f32_e32 v45, v39, v36
	v_add_f32_e32 v41, v59, v37
	v_mul_f32_e32 v85, v47, v87
	v_fmac_f32_e32 v50, v47, v86
	v_sub_f32_e32 v39, v11, v39
	v_sub_f32_e32 v36, v36, v11
	v_add_f32_e32 v11, v44, v11
	v_mul_f32_e32 v9, 0x3f4a47b2, v9
	v_mul_f32_e32 v44, 0x3d64c772, v13
	;; [unrolled: 1-line block ×3, first 2 shown]
	v_mov_b32_e32 v47, v41
	v_mul_f32_e32 v46, 0xbf5ff5aa, v36
	v_fmac_f32_e32 v47, 0xbf955555, v37
	v_fma_f32 v37, v43, s7, -v44
	v_fma_f32 v43, v43, s10, -v9
	v_fmac_f32_e32 v9, 0x3d64c772, v13
	v_fma_f32 v13, v36, s6, -v45
	v_fmac_f32_e32 v45, 0xbeae86e6, v39
	v_fma_f32 v36, v39, s11, -v46
	v_add_f32_e32 v9, v9, v47
	v_add_f32_e32 v37, v37, v47
	v_fmac_f32_e32 v45, 0xbee1c552, v11
	v_fmac_f32_e32 v13, 0xbee1c552, v11
	v_mul_f32_e32 v19, v22, v93
	v_fmac_f32_e32 v36, 0xbee1c552, v11
	v_add_f32_e32 v11, v45, v9
	v_sub_f32_e32 v44, v37, v13
	v_add_f32_e32 v13, v13, v37
	v_sub_f32_e32 v9, v9, v45
	v_add_f32_e32 v37, v18, v50
	v_add_f32_e32 v45, v32, v35
	v_mul_f32_e32 v87, v54, v93
	v_mul_f32_e32 v20, v23, v95
	v_fma_f32 v7, v7, v90, -v81
	v_fma_f32 v5, v5, v84, -v83
	v_fma_f32 v3, v3, v86, -v85
	v_fmac_f32_e32 v19, v54, v92
	v_add_f32_e32 v39, v43, v47
	v_add_f32_e32 v47, v33, v34
	;; [unrolled: 1-line block ×3, first 2 shown]
	v_mul_f32_e32 v89, v53, v95
	v_fmac_f32_e32 v20, v53, v94
	v_add_f32_e32 v43, v36, v39
	v_sub_f32_e32 v36, v39, v36
	v_sub_f32_e32 v39, v2, v3
	;; [unrolled: 1-line block ×7, first 2 shown]
	v_add_f32_e32 v47, v47, v54
	v_fmac_f32_e32 v28, v61, v100
	v_fmac_f32_e32 v30, v60, v102
	v_add_f32_e32 v60, v53, v46
	v_sub_f32_e32 v61, v53, v46
	v_sub_f32_e32 v46, v46, v39
	v_add_f32_e32 v54, v58, v47
	v_fmac_f32_e32 v25, v62, v98
	v_sub_f32_e32 v53, v39, v53
	v_add_f32_e32 v39, v60, v39
	v_mul_f32_e32 v37, 0x3f4a47b2, v37
	v_mul_f32_e32 v58, 0x3d64c772, v45
	;; [unrolled: 1-line block ×4, first 2 shown]
	v_mov_b32_e32 v62, v54
	v_fmac_f32_e32 v62, 0xbf955555, v47
	v_fma_f32 v47, v59, s7, -v58
	v_fma_f32 v58, v59, s10, -v37
	v_fmac_f32_e32 v37, 0x3d64c772, v45
	v_fma_f32 v45, v46, s6, -v60
	v_fmac_f32_e32 v60, 0xbeae86e6, v53
	v_fma_f32 v46, v53, s11, -v61
	v_add_f32_e32 v37, v37, v62
	v_add_f32_e32 v47, v47, v62
	;; [unrolled: 1-line block ×3, first 2 shown]
	v_fmac_f32_e32 v60, 0xbee1c552, v39
	v_fmac_f32_e32 v45, 0xbee1c552, v39
	;; [unrolled: 1-line block ×3, first 2 shown]
	v_mov_b32_e32 v39, 2
	v_add_f32_e32 v58, v60, v37
	v_add_f32_e32 v59, v46, v53
	v_sub_f32_e32 v61, v47, v45
	v_add_f32_e32 v45, v45, v47
	v_sub_f32_e32 v46, v53, v46
	v_sub_f32_e32 v47, v37, v60
	v_mul_u32_u24_e32 v37, 0x1dc, v104
	v_lshlrev_b32_sdwa v53, v39, v105 dst_sel:DWORD dst_unused:UNUSED_PAD src0_sel:DWORD src1_sel:BYTE_0
	v_add3_u32 v37, 0, v37, v53
	v_mul_f32_e32 v21, v24, v97
	v_mul_f32_e32 v91, v63, v97
	ds_write2_b32 v37, v41, v11 offset1:17
	ds_write2_b32 v37, v43, v44 offset0:34 offset1:51
	ds_write2_b32 v37, v13, v36 offset0:68 offset1:85
	ds_write_b32 v37, v9 offset:408
	v_mul_u32_u24_e32 v9, 0x1dc, v106
	v_lshlrev_b32_sdwa v11, v39, v107 dst_sel:DWORD dst_unused:UNUSED_PAD src0_sel:DWORD src1_sel:BYTE_0
	v_fma_f32 v22, v22, v92, -v87
	v_fma_f32 v23, v23, v94, -v89
	v_fmac_f32_e32 v21, v63, v96
	v_fma_f32 v24, v24, v96, -v91
	v_add3_u32 v39, 0, v9, v11
	v_lshlrev_b32_e32 v36, 2, v108
	ds_write2_b32 v39, v54, v58 offset1:17
	ds_write2_b32 v39, v59, v61 offset0:34 offset1:51
	ds_write2_b32 v39, v45, v46 offset0:68 offset1:85
	ds_write_b32 v39, v47 offset:408
	s_and_saveexec_b64 s[4:5], s[0:1]
	s_cbranch_execz .LBB0_19
; %bb.18:
	v_add_f32_e32 v9, v19, v30
	v_add_f32_e32 v11, v21, v25
	v_sub_f32_e32 v13, v9, v11
	v_mul_f32_e32 v13, 0x3f4a47b2, v13
	v_add_f32_e32 v41, v20, v28
	v_sub_f32_e32 v43, v11, v41
	v_mov_b32_e32 v45, v13
	v_mul_f32_e32 v44, 0x3d64c772, v43
	v_fmac_f32_e32 v45, 0x3d64c772, v43
	v_add_f32_e32 v43, v41, v9
	v_add_f32_e32 v11, v11, v43
	;; [unrolled: 1-line block ×3, first 2 shown]
	v_mov_b32_e32 v46, v43
	v_fmac_f32_e32 v46, 0xbf955555, v11
	v_sub_f32_e32 v47, v27, v24
	v_sub_f32_e32 v53, v23, v29
	v_add_f32_e32 v11, v45, v46
	v_sub_f32_e32 v45, v22, v31
	v_sub_f32_e32 v54, v47, v53
	;; [unrolled: 1-line block ×3, first 2 shown]
	v_mul_f32_e32 v54, 0x3f08b237, v54
	v_add_f32_e32 v47, v47, v53
	v_sub_f32_e32 v9, v41, v9
	v_sub_f32_e32 v41, v53, v45
	v_add_f32_e32 v47, v47, v45
	v_fma_f32 v13, v9, s10, -v13
	v_mul_f32_e32 v45, 0xbf5ff5aa, v41
	v_fma_f32 v41, v41, s6, -v54
	v_fma_f32 v9, v9, s7, -v44
	v_mov_b32_e32 v58, v54
	v_fmac_f32_e32 v41, 0xbee1c552, v47
	v_add_f32_e32 v9, v9, v46
	v_fmac_f32_e32 v58, 0xbeae86e6, v52
	v_add_f32_e32 v44, v41, v9
	v_sub_f32_e32 v9, v9, v41
	v_mul_lo_u16_e32 v41, 0x77, v17
	v_fmac_f32_e32 v58, 0xbee1c552, v47
	v_fma_f32 v45, v52, s11, -v45
	v_lshlrev_b32_e32 v41, 2, v41
	v_sub_f32_e32 v59, v11, v58
	v_add_f32_e32 v13, v13, v46
	v_fmac_f32_e32 v45, 0xbee1c552, v47
	v_add_f32_e32 v11, v58, v11
	v_add3_u32 v41, 0, v36, v41
	v_sub_f32_e32 v52, v13, v45
	v_add_f32_e32 v13, v45, v13
	ds_write2_b32 v41, v43, v11 offset1:17
	ds_write2_b32 v41, v13, v9 offset0:34 offset1:51
	ds_write2_b32 v41, v44, v52 offset0:68 offset1:85
	ds_write_b32 v41, v59 offset:408
.LBB0_19:
	s_or_b64 exec, exec, s[4:5]
	v_add_f32_e32 v9, v12, v42
	v_add_f32_e32 v10, v10, v40
	;; [unrolled: 1-line block ×4, first 2 shown]
	v_sub_f32_e32 v12, v57, v66
	v_sub_f32_e32 v13, v65, v64
	;; [unrolled: 1-line block ×5, first 2 shown]
	v_add_f32_e32 v8, v8, v38
	v_sub_f32_e32 v11, v51, v67
	v_add_f32_e32 v41, v13, v12
	v_sub_f32_e32 v42, v13, v12
	;; [unrolled: 2-line block ×3, first 2 shown]
	v_sub_f32_e32 v12, v12, v11
	v_add_f32_e32 v11, v41, v11
	v_mul_f32_e32 v9, 0x3f4a47b2, v9
	v_mul_f32_e32 v15, 0x3d64c772, v10
	;; [unrolled: 1-line block ×3, first 2 shown]
	v_mov_b32_e32 v43, v38
	v_fmac_f32_e32 v43, 0xbf955555, v8
	v_fma_f32 v8, v40, s7, -v15
	v_fma_f32 v15, v40, s10, -v9
	v_fmac_f32_e32 v9, 0x3d64c772, v10
	v_fma_f32 v10, v12, s6, -v41
	v_mul_f32_e32 v42, 0xbf5ff5aa, v12
	v_fmac_f32_e32 v41, 0xbeae86e6, v13
	v_add_f32_e32 v8, v8, v43
	v_fmac_f32_e32 v10, 0xbee1c552, v11
	v_add_f32_e32 v2, v2, v3
	v_add_f32_e32 v4, v4, v5
	v_fma_f32 v12, v13, s11, -v42
	v_add_f32_e32 v9, v9, v43
	v_add_f32_e32 v13, v15, v43
	v_fmac_f32_e32 v41, 0xbee1c552, v11
	v_add_f32_e32 v43, v10, v8
	v_sub_f32_e32 v44, v8, v10
	v_add_f32_e32 v6, v6, v7
	v_add_f32_e32 v8, v4, v2
	v_sub_f32_e32 v40, v9, v41
	v_add_f32_e32 v41, v41, v9
	v_sub_f32_e32 v5, v32, v35
	v_sub_f32_e32 v7, v34, v33
	;; [unrolled: 1-line block ×5, first 2 shown]
	v_add_f32_e32 v6, v6, v8
	v_fmac_f32_e32 v12, 0xbee1c552, v11
	v_sub_f32_e32 v3, v18, v50
	v_add_f32_e32 v10, v7, v5
	v_sub_f32_e32 v11, v7, v5
	v_add_f32_e32 v34, v14, v6
	v_sub_f32_e32 v42, v13, v12
	v_add_f32_e32 v45, v12, v13
	v_sub_f32_e32 v7, v3, v7
	v_sub_f32_e32 v5, v5, v3
	v_add_f32_e32 v3, v10, v3
	v_mul_f32_e32 v2, 0x3f4a47b2, v2
	v_mul_f32_e32 v8, 0x3d64c772, v4
	;; [unrolled: 1-line block ×3, first 2 shown]
	v_mov_b32_e32 v12, v34
	v_fmac_f32_e32 v12, 0xbf955555, v6
	v_fma_f32 v6, v9, s7, -v8
	v_fma_f32 v8, v9, s10, -v2
	v_fmac_f32_e32 v2, 0x3d64c772, v4
	v_fma_f32 v4, v5, s6, -v10
	v_fmac_f32_e32 v10, 0xbeae86e6, v7
	v_mul_f32_e32 v11, 0xbf5ff5aa, v5
	v_add_f32_e32 v2, v2, v12
	v_fmac_f32_e32 v10, 0xbee1c552, v3
	v_fma_f32 v5, v7, s11, -v11
	v_sub_f32_e32 v35, v2, v10
	v_add_f32_e32 v52, v10, v2
	v_add_u32_e32 v2, 0x400, v26
	v_add_f32_e32 v6, v6, v12
	v_add_f32_e32 v7, v8, v12
	v_fmac_f32_e32 v4, 0xbee1c552, v3
	v_fmac_f32_e32 v5, 0xbee1c552, v3
	s_waitcnt lgkmcnt(0)
	s_barrier
	ds_read_b32 v18, v26
	ds_read_b32 v32, v55
	;; [unrolled: 1-line block ×3, first 2 shown]
	ds_read2_b32 v[10:11], v2 offset0:101 offset1:220
	v_add_u32_e32 v2, 0x800, v26
	v_sub_f32_e32 v46, v7, v5
	v_add_f32_e32 v47, v4, v6
	v_sub_f32_e32 v50, v6, v4
	v_add_f32_e32 v51, v5, v7
	ds_read2_b32 v[6:7], v2 offset0:83 offset1:202
	v_add_u32_e32 v2, 0xc00, v26
	v_add_u32_e32 v4, 0x1000, v26
	;; [unrolled: 1-line block ×5, first 2 shown]
	ds_read2_b32 v[2:3], v2 offset0:65 offset1:184
	ds_read2_b32 v[4:5], v4 offset0:47 offset1:166
	;; [unrolled: 1-line block ×5, first 2 shown]
	s_waitcnt lgkmcnt(0)
	s_barrier
	ds_write2_b32 v37, v38, v40 offset1:17
	ds_write2_b32 v37, v42, v43 offset0:34 offset1:51
	ds_write2_b32 v37, v44, v45 offset0:68 offset1:85
	ds_write_b32 v37, v41 offset:408
	ds_write2_b32 v39, v34, v35 offset1:17
	ds_write2_b32 v39, v46, v47 offset0:34 offset1:51
	ds_write2_b32 v39, v50, v51 offset0:68 offset1:85
	ds_write_b32 v39, v52 offset:408
	s_and_saveexec_b64 s[4:5], s[0:1]
	s_cbranch_execz .LBB0_21
; %bb.20:
	v_add_f32_e32 v22, v22, v31
	v_add_f32_e32 v23, v23, v29
	;; [unrolled: 1-line block ×3, first 2 shown]
	v_sub_f32_e32 v21, v25, v21
	v_add_f32_e32 v25, v23, v22
	v_sub_f32_e32 v27, v23, v22
	v_sub_f32_e32 v22, v22, v24
	;; [unrolled: 1-line block ×3, first 2 shown]
	v_add_f32_e32 v24, v24, v25
	v_sub_f32_e32 v20, v20, v28
	v_add_f32_e32 v16, v16, v24
	v_sub_f32_e32 v19, v19, v30
	;; [unrolled: 2-line block ×3, first 2 shown]
	v_mul_f32_e32 v25, 0x3d64c772, v23
	v_mov_b32_e32 v30, v16
	s_mov_b32 s1, 0x3f3bfb3b
	v_sub_f32_e32 v21, v19, v21
	v_sub_f32_e32 v20, v20, v19
	v_add_f32_e32 v19, v28, v19
	v_mul_f32_e32 v22, 0x3f4a47b2, v22
	v_mul_f32_e32 v28, 0x3f08b237, v29
	s_mov_b32 s0, 0xbf5ff5aa
	v_fmac_f32_e32 v30, 0xbf955555, v24
	v_fma_f32 v24, v27, s1, -v25
	s_mov_b32 s1, 0xbf3bfb3b
	v_mul_f32_e32 v29, 0xbf5ff5aa, v20
	v_fma_f32 v25, v27, s1, -v22
	v_fmac_f32_e32 v22, 0x3d64c772, v23
	v_fma_f32 v20, v20, s0, -v28
	v_fmac_f32_e32 v28, 0xbeae86e6, v21
	s_mov_b32 s0, 0x3eae86e6
	v_mul_lo_u16_e32 v17, 0x77, v17
	v_fma_f32 v21, v21, s0, -v29
	v_add_f32_e32 v22, v22, v30
	v_fmac_f32_e32 v28, 0xbee1c552, v19
	v_lshlrev_b32_e32 v17, 2, v17
	v_add_f32_e32 v23, v24, v30
	v_add_f32_e32 v24, v25, v30
	v_fmac_f32_e32 v20, 0xbee1c552, v19
	v_fmac_f32_e32 v21, 0xbee1c552, v19
	v_sub_f32_e32 v19, v22, v28
	v_add3_u32 v17, 0, v36, v17
	v_sub_f32_e32 v25, v24, v21
	v_add_f32_e32 v27, v20, v23
	v_sub_f32_e32 v20, v23, v20
	v_add_f32_e32 v21, v21, v24
	v_add_f32_e32 v22, v28, v22
	ds_write2_b32 v17, v16, v19 offset1:17
	ds_write2_b32 v17, v25, v27 offset0:34 offset1:51
	ds_write2_b32 v17, v20, v21 offset0:68 offset1:85
	ds_write_b32 v17, v22 offset:408
.LBB0_21:
	s_or_b64 exec, exec, s[4:5]
	s_waitcnt lgkmcnt(0)
	s_barrier
	s_and_saveexec_b64 s[0:1], vcc
	s_cbranch_execz .LBB0_23
; %bb.22:
	v_lshlrev_b32_e32 v16, 4, v49
	v_mov_b32_e32 v17, 0
	v_lshlrev_b64 v[16:17], 3, v[16:17]
	v_mov_b32_e32 v19, s9
	v_add_co_u32_e32 v16, vcc, s8, v16
	v_addc_co_u32_e32 v17, vcc, v19, v17, vcc
	global_load_dwordx4 v[20:23], v[16:17], off offset:816
	global_load_dwordx4 v[39:42], v[16:17], off offset:928
	;; [unrolled: 1-line block ×6, first 2 shown]
	v_add_u32_e32 v24, 0x1a00, v26
	ds_read_b32 v37, v55
	ds_read_b32 v19, v26
	;; [unrolled: 1-line block ×3, first 2 shown]
	v_add_u32_e32 v27, 0x400, v26
	v_add_u32_e32 v28, 0x1800, v26
	v_add_u32_e32 v29, 0x800, v26
	v_add_u32_e32 v30, 0x1400, v26
	ds_read2_b32 v[24:25], v24 offset0:121 offset1:240
	ds_read2_b32 v[53:54], v27 offset0:101 offset1:220
	;; [unrolled: 1-line block ×5, first 2 shown]
	global_load_dwordx4 v[82:85], v[16:17], off offset:864
	global_load_dwordx4 v[86:89], v[16:17], off offset:880
	s_mov_b32 s0, 0x3f6eb680
	s_mov_b32 s1, 0x3f3d2fb0
	s_mov_b32 s4, 0x3ee437d1
	s_mov_b32 s5, 0x3dbcf732
	s_mov_b32 s6, 0xbe8c1d8e
	s_mov_b32 s7, 0xbf1a4643
	s_mov_b32 s8, 0xbf59a7d5
	s_mov_b32 s9, 0xbf7ba420
	s_waitcnt vmcnt(7)
	v_mul_f32_e32 v30, v32, v20
	s_waitcnt vmcnt(6)
	v_mul_f32_e32 v27, v15, v41
	v_mul_f32_e32 v15, v15, v42
	;; [unrolled: 1-line block ×6, first 2 shown]
	s_waitcnt lgkmcnt(7)
	v_fmac_f32_e32 v30, v37, v21
	s_waitcnt lgkmcnt(4)
	v_fmac_f32_e32 v27, v25, v42
	v_mul_f32_e32 v17, v33, v23
	s_waitcnt vmcnt(5)
	v_mul_f32_e32 v33, v10, v43
	s_waitcnt vmcnt(4)
	v_mul_f32_e32 v29, v13, v59
	v_fma_f32 v38, v25, v41, -v15
	v_fmac_f32_e32 v32, v47, v23
	v_fmac_f32_e32 v28, v24, v40
	v_fma_f32 v41, v24, v39, -v14
	v_sub_f32_e32 v24, v30, v27
	v_mul_f32_e32 v10, v10, v44
	v_mul_f32_e32 v35, v11, v45
	;; [unrolled: 1-line block ×3, first 2 shown]
	v_fma_f32 v51, v37, v20, -v16
	s_waitcnt lgkmcnt(3)
	v_fmac_f32_e32 v33, v53, v44
	s_waitcnt lgkmcnt(2)
	v_fmac_f32_e32 v29, v50, v60
	v_sub_f32_e32 v23, v32, v28
	v_mul_f32_e32 v69, 0xbeb8f4ab, v24
	v_mul_f32_e32 v13, v13, v60
	;; [unrolled: 1-line block ×3, first 2 shown]
	s_waitcnt vmcnt(3)
	v_mul_f32_e32 v36, v6, v76
	s_waitcnt vmcnt(2)
	v_mul_f32_e32 v34, v9, v74
	v_fma_f32 v52, v47, v22, -v17
	v_fma_f32 v53, v53, v43, -v10
	v_fmac_f32_e32 v35, v54, v46
	v_fmac_f32_e32 v31, v49, v58
	v_add_f32_e32 v61, v51, v38
	v_sub_f32_e32 v22, v33, v29
	v_mul_f32_e32 v67, 0xbf2c7751, v23
	v_mov_b32_e32 v10, v69
	v_mul_f32_e32 v12, v12, v58
	v_fma_f32 v44, v50, v59, -v13
	v_fma_f32 v54, v54, v45, -v11
	s_waitcnt lgkmcnt(1)
	v_fmac_f32_e32 v36, v80, v77
	s_waitcnt lgkmcnt(0)
	v_fmac_f32_e32 v34, v91, v75
	v_add_f32_e32 v62, v52, v41
	v_sub_f32_e32 v21, v35, v31
	v_mul_f32_e32 v65, 0xbf65296c, v22
	v_mov_b32_e32 v11, v67
	v_fmac_f32_e32 v10, 0x3f6eb680, v61
	v_fma_f32 v50, v49, v57, -v12
	v_add_f32_e32 v59, v53, v44
	v_sub_f32_e32 v20, v36, v34
	v_mul_f32_e32 v64, 0xbf7ee86f, v21
	v_mov_b32_e32 v12, v65
	v_fmac_f32_e32 v11, 0x3f3d2fb0, v62
	v_add_f32_e32 v10, v19, v10
	v_mul_f32_e32 v9, v9, v75
	v_mul_f32_e32 v6, v6, v77
	v_add_f32_e32 v60, v54, v50
	v_mul_f32_e32 v71, 0xbf763a35, v20
	v_mov_b32_e32 v13, v64
	v_fmac_f32_e32 v12, 0x3ee437d1, v59
	v_add_f32_e32 v10, v10, v11
	v_fma_f32 v57, v91, v74, -v9
	v_fma_f32 v58, v80, v76, -v6
	v_fmac_f32_e32 v13, 0x3dbcf732, v60
	v_add_f32_e32 v10, v10, v12
	v_add_f32_e32 v75, v58, v57
	v_mov_b32_e32 v6, v71
	v_add_f32_e32 v10, v10, v13
	v_fmac_f32_e32 v6, 0xbe8c1d8e, v75
	v_add_f32_e32 v10, v10, v6
	v_mul_f32_e32 v6, v8, v73
	v_fma_f32 v63, v90, v72, -v6
	v_mul_f32_e32 v6, v7, v79
	v_mul_f32_e32 v55, v8, v72
	v_fma_f32 v70, v81, v78, -v6
	v_add_u32_e32 v6, 0xc00, v26
	v_add_u32_e32 v8, 0x1000, v26
	v_mul_f32_e32 v56, v7, v78
	ds_read2_b32 v[6:7], v6 offset0:65 offset1:184
	ds_read2_b32 v[8:9], v8 offset0:47 offset1:166
	v_fmac_f32_e32 v56, v81, v79
	v_fmac_f32_e32 v55, v90, v73
	s_waitcnt vmcnt(1)
	v_mul_f32_e32 v68, v2, v82
	s_waitcnt vmcnt(0)
	v_mul_f32_e32 v66, v5, v88
	v_sub_f32_e32 v25, v56, v55
	s_waitcnt lgkmcnt(1)
	v_fmac_f32_e32 v68, v6, v83
	s_waitcnt lgkmcnt(0)
	v_fmac_f32_e32 v66, v9, v89
	v_mul_f32_e32 v72, v3, v84
	v_mul_f32_e32 v73, v4, v86
	;; [unrolled: 1-line block ×3, first 2 shown]
	v_sub_f32_e32 v26, v68, v66
	v_mul_f32_e32 v5, v5, v89
	v_mul_f32_e32 v2, v2, v83
	v_fmac_f32_e32 v72, v7, v85
	v_fmac_f32_e32 v73, v8, v87
	v_add_f32_e32 v79, v70, v63
	v_mov_b32_e32 v11, v77
	v_mul_f32_e32 v81, 0xbf06c442, v26
	v_fma_f32 v74, v9, v88, -v5
	v_fma_f32 v76, v6, v82, -v2
	v_sub_f32_e32 v37, v72, v73
	v_mul_f32_e32 v4, v4, v87
	v_mul_f32_e32 v3, v3, v85
	v_fmac_f32_e32 v11, 0xbf1a4643, v79
	v_add_f32_e32 v82, v76, v74
	v_mov_b32_e32 v2, v81
	v_mul_f32_e32 v83, 0xbe3c28d5, v37
	v_fma_f32 v78, v8, v86, -v4
	v_fma_f32 v80, v7, v84, -v3
	v_add_f32_e32 v10, v10, v11
	v_fmac_f32_e32 v2, 0xbf59a7d5, v82
	v_add_f32_e32 v84, v80, v78
	v_mov_b32_e32 v3, v83
	v_sub_f32_e32 v109, v51, v38
	v_add_f32_e32 v2, v10, v2
	v_fmac_f32_e32 v3, 0xbf7ba420, v84
	v_add_f32_e32 v39, v30, v27
	v_mul_f32_e32 v85, 0xbeb8f4ab, v109
	v_sub_f32_e32 v110, v52, v41
	v_add_f32_e32 v3, v2, v3
	v_fma_f32 v2, v39, s0, -v85
	v_add_f32_e32 v40, v32, v28
	v_mul_f32_e32 v86, 0xbf2c7751, v110
	v_sub_f32_e32 v111, v53, v44
	v_add_f32_e32 v2, v18, v2
	v_fma_f32 v4, v40, s1, -v86
	;; [unrolled: 5-line block ×7, first 2 shown]
	v_add_f32_e32 v49, v72, v73
	v_mul_f32_e32 v92, 0xbe3c28d5, v113
	v_add_f32_e32 v2, v2, v4
	v_fma_f32 v4, v49, s9, -v92
	v_mul_f32_e32 v94, 0xbf2c7751, v24
	v_add_f32_e32 v2, v2, v4
	v_mov_b32_e32 v4, v94
	v_mul_f32_e32 v95, 0xbf7ee86f, v23
	v_fmac_f32_e32 v4, 0x3f3d2fb0, v61
	v_mov_b32_e32 v5, v95
	v_add_f32_e32 v4, v19, v4
	v_fmac_f32_e32 v5, 0x3dbcf732, v62
	v_mul_f32_e32 v96, 0xbf4c4adb, v22
	v_add_f32_e32 v4, v4, v5
	v_mov_b32_e32 v5, v96
	v_fmac_f32_e32 v5, 0xbf1a4643, v59
	v_mul_f32_e32 v97, 0xbe3c28d5, v21
	v_add_f32_e32 v4, v4, v5
	v_mov_b32_e32 v5, v97
	;; [unrolled: 4-line block ×6, first 2 shown]
	v_fmac_f32_e32 v5, 0x3f6eb680, v84
	v_mul_f32_e32 v102, 0xbf2c7751, v109
	v_add_f32_e32 v5, v4, v5
	v_fma_f32 v4, v39, s1, -v102
	v_mul_f32_e32 v103, 0xbf7ee86f, v110
	v_add_f32_e32 v4, v18, v4
	v_fma_f32 v6, v40, s5, -v103
	;; [unrolled: 3-line block ×8, first 2 shown]
	v_mul_f32_e32 v119, 0xbf65296c, v24
	v_add_f32_e32 v4, v4, v6
	v_mov_b32_e32 v6, v119
	v_mul_f32_e32 v120, 0xbf4c4adb, v23
	v_fmac_f32_e32 v6, 0x3ee437d1, v61
	v_mov_b32_e32 v7, v120
	v_add_f32_e32 v6, v19, v6
	v_fmac_f32_e32 v7, 0xbf1a4643, v62
	v_mul_f32_e32 v121, 0x3e3c28d5, v22
	v_add_f32_e32 v6, v6, v7
	v_mov_b32_e32 v7, v121
	v_fmac_f32_e32 v7, 0xbf7ba420, v59
	v_mul_f32_e32 v122, 0x3f763a35, v21
	v_add_f32_e32 v6, v6, v7
	v_mov_b32_e32 v7, v122
	;; [unrolled: 4-line block ×5, first 2 shown]
	v_fmac_f32_e32 v7, 0x3dbcf732, v82
	v_mul_f32_e32 v126, 0xbf65296c, v109
	v_add_f32_e32 v6, v6, v7
	v_fma_f32 v7, v39, s4, -v126
	v_mul_f32_e32 v127, 0xbf4c4adb, v110
	v_add_f32_e32 v7, v18, v7
	v_fma_f32 v8, v40, s7, -v127
	;; [unrolled: 3-line block ×7, first 2 shown]
	v_mul_f32_e32 v133, 0xbf06c442, v37
	v_add_f32_e32 v8, v7, v8
	v_mov_b32_e32 v7, v133
	v_fmac_f32_e32 v7, 0xbf59a7d5, v84
	v_mul_f32_e32 v134, 0xbf06c442, v113
	v_add_f32_e32 v7, v6, v7
	v_fma_f32 v6, v49, s8, -v134
	v_mul_f32_e32 v16, 0xbf4c4adb, v24
	v_add_f32_e32 v6, v8, v6
	v_mov_b32_e32 v8, v16
	v_mul_f32_e32 v17, 0x3f763a35, v23
	v_fmac_f32_e32 v8, 0xbf1a4643, v61
	v_mov_b32_e32 v9, v17
	v_add_f32_e32 v8, v19, v8
	v_fmac_f32_e32 v9, 0xbe8c1d8e, v62
	v_mul_f32_e32 v117, 0xbeb8f4ab, v22
	v_add_f32_e32 v8, v8, v9
	v_mov_b32_e32 v9, v117
	v_fmac_f32_e32 v9, 0x3f6eb680, v59
	v_mul_f32_e32 v118, 0xbf06c442, v21
	v_add_f32_e32 v8, v8, v9
	v_mov_b32_e32 v9, v118
	;; [unrolled: 4-line block ×5, first 2 shown]
	v_fmac_f32_e32 v9, 0xbf7ba420, v82
	v_mul_f32_e32 v138, 0xbf4c4adb, v109
	v_add_f32_e32 v8, v8, v9
	v_fma_f32 v9, v39, s7, -v138
	v_mul_f32_e32 v139, 0x3f763a35, v110
	v_add_f32_e32 v9, v18, v9
	v_fma_f32 v10, v40, s6, -v139
	;; [unrolled: 3-line block ×7, first 2 shown]
	v_mul_f32_e32 v145, 0x3f65296c, v37
	v_add_f32_e32 v10, v9, v10
	v_mov_b32_e32 v9, v145
	v_fmac_f32_e32 v9, 0x3ee437d1, v84
	v_mul_f32_e32 v146, 0x3f65296c, v113
	v_add_f32_e32 v9, v8, v9
	v_fma_f32 v8, v49, s4, -v146
	v_mul_f32_e32 v12, 0xbe3c28d5, v24
	v_add_f32_e32 v8, v10, v8
	v_mov_b32_e32 v10, v12
	v_mul_f32_e32 v13, 0x3eb8f4ab, v23
	v_fmac_f32_e32 v10, 0xbf7ba420, v61
	v_mov_b32_e32 v11, v13
	v_add_f32_e32 v10, v19, v10
	v_fmac_f32_e32 v11, 0x3f6eb680, v62
	v_mul_f32_e32 v14, 0xbf06c442, v22
	v_add_f32_e32 v10, v10, v11
	v_mov_b32_e32 v11, v14
	v_fmac_f32_e32 v11, 0xbf59a7d5, v59
	v_mul_f32_e32 v15, 0x3f2c7751, v21
	v_add_f32_e32 v10, v10, v11
	v_mov_b32_e32 v11, v15
	;; [unrolled: 4-line block ×5, first 2 shown]
	v_fmac_f32_e32 v11, 0xbe8c1d8e, v82
	v_mul_f32_e32 v150, 0xbe3c28d5, v109
	v_add_f32_e32 v10, v10, v11
	v_fma_f32 v11, v39, s9, -v150
	v_mul_f32_e32 v151, 0x3eb8f4ab, v110
	v_add_f32_e32 v11, v18, v11
	v_fma_f32 v152, v40, s0, -v151
	v_fma_f32 v12, v61, s9, -v12
	v_add_f32_e32 v11, v11, v152
	v_mul_f32_e32 v152, 0xbf06c442, v111
	v_add_f32_e32 v12, v19, v12
	v_fma_f32 v13, v62, s0, -v13
	v_fma_f32 v153, v42, s8, -v152
	v_add_f32_e32 v12, v12, v13
	v_fma_f32 v13, v59, s8, -v14
	v_add_f32_e32 v11, v11, v153
	v_mul_f32_e32 v153, 0x3f2c7751, v112
	v_add_f32_e32 v12, v12, v13
	v_fma_f32 v13, v60, s1, -v15
	v_fma_f32 v154, v45, s1, -v153
	v_add_f32_e32 v12, v12, v13
	;; [unrolled: 7-line block ×3, first 2 shown]
	v_fma_f32 v13, v82, s6, -v149
	v_fmac_f32_e32 v150, 0xbf7ba420, v39
	v_add_f32_e32 v11, v11, v155
	v_mul_f32_e32 v155, 0x3f65296c, v115
	v_add_f32_e32 v12, v12, v13
	v_add_f32_e32 v13, v18, v150
	v_fmac_f32_e32 v151, 0x3f6eb680, v40
	v_fma_f32 v156, v43, s4, -v155
	v_add_f32_e32 v13, v13, v151
	v_fmac_f32_e32 v152, 0xbf59a7d5, v42
	v_add_f32_e32 v11, v11, v156
	v_mul_f32_e32 v156, 0xbf763a35, v116
	v_add_f32_e32 v13, v13, v152
	v_fmac_f32_e32 v153, 0x3f3d2fb0, v45
	v_fma_f32 v157, v46, s6, -v156
	v_mul_f32_e32 v158, 0x3f7ee86f, v37
	v_add_f32_e32 v13, v13, v153
	v_fmac_f32_e32 v154, 0xbf1a4643, v47
	v_add_f32_e32 v157, v11, v157
	v_mov_b32_e32 v11, v158
	v_add_f32_e32 v13, v13, v154
	v_fmac_f32_e32 v155, 0x3ee437d1, v43
	v_fmac_f32_e32 v11, 0x3dbcf732, v84
	v_mul_f32_e32 v159, 0x3f7ee86f, v113
	v_add_f32_e32 v13, v13, v155
	v_fmac_f32_e32 v156, 0xbe8c1d8e, v46
	v_fma_f32 v16, v61, s7, -v16
	v_add_f32_e32 v11, v10, v11
	v_fma_f32 v10, v49, s5, -v159
	v_add_f32_e32 v14, v13, v156
	v_fma_f32 v13, v84, s5, -v158
	v_fmac_f32_e32 v159, 0x3dbcf732, v49
	v_mul_f32_e32 v147, 0xbf59a7d5, v61
	v_add_f32_e32 v16, v19, v16
	v_fma_f32 v17, v62, s6, -v17
	v_add_f32_e32 v13, v12, v13
	v_add_f32_e32 v12, v14, v159
	v_mov_b32_e32 v14, v147
	v_mul_f32_e32 v148, 0x3ee437d1, v62
	v_add_f32_e32 v16, v16, v17
	v_fma_f32 v17, v59, s0, -v117
	v_fmac_f32_e32 v14, 0x3f06c442, v24
	v_mov_b32_e32 v15, v148
	v_add_f32_e32 v16, v16, v17
	v_fma_f32 v17, v60, s8, -v118
	v_add_f32_e32 v14, v19, v14
	v_fmac_f32_e32 v15, 0xbf65296c, v23
	v_mul_f32_e32 v149, 0x3dbcf732, v59
	v_add_f32_e32 v16, v16, v17
	v_fma_f32 v17, v75, s5, -v135
	v_add_f32_e32 v14, v14, v15
	v_mov_b32_e32 v15, v149
	v_add_f32_e32 v16, v16, v17
	v_fma_f32 v17, v79, s1, -v136
	v_fmac_f32_e32 v15, 0x3f7ee86f, v22
	v_mul_f32_e32 v150, 0xbf1a4643, v60
	v_add_f32_e32 v16, v16, v17
	v_fma_f32 v17, v82, s9, -v137
	v_fmac_f32_e32 v138, 0xbf1a4643, v39
	v_add_f32_e32 v14, v14, v15
	v_mov_b32_e32 v15, v150
	v_add_f32_e32 v16, v16, v17
	v_add_f32_e32 v17, v18, v138
	v_fmac_f32_e32 v139, 0xbe8c1d8e, v40
	v_fmac_f32_e32 v15, 0xbf4c4adb, v21
	v_mul_f32_e32 v151, 0x3f6eb680, v75
	v_add_f32_e32 v17, v17, v139
	v_fmac_f32_e32 v140, 0x3f6eb680, v42
	v_add_f32_e32 v14, v14, v15
	v_mov_b32_e32 v15, v151
	v_add_f32_e32 v17, v17, v140
	v_fmac_f32_e32 v141, 0xbf59a7d5, v45
	v_fmac_f32_e32 v15, 0x3eb8f4ab, v20
	v_mul_f32_e32 v152, 0xbf7ba420, v79
	v_add_f32_e32 v17, v17, v141
	v_fmac_f32_e32 v142, 0x3dbcf732, v47
	v_add_f32_e32 v14, v14, v15
	v_mov_b32_e32 v15, v152
	;; [unrolled: 8-line block ×3, first 2 shown]
	v_add_f32_e32 v117, v17, v144
	v_fma_f32 v17, v84, s4, -v145
	v_fmac_f32_e32 v146, 0x3ee437d1, v49
	v_mul_f32_e32 v135, 0xbe8c1d8e, v61
	v_fmac_f32_e32 v15, 0xbf2c7751, v26
	v_mul_f32_e32 v154, 0xbf06c442, v109
	v_add_f32_e32 v17, v16, v17
	v_add_f32_e32 v16, v117, v146
	v_mov_b32_e32 v117, v135
	v_mul_f32_e32 v136, 0xbf59a7d5, v62
	v_add_f32_e32 v14, v14, v15
	v_mov_b32_e32 v15, v154
	v_mul_f32_e32 v155, 0x3f65296c, v110
	v_fmac_f32_e32 v117, 0x3f763a35, v24
	v_mov_b32_e32 v118, v136
	v_fmac_f32_e32 v15, 0xbf59a7d5, v39
	v_mov_b32_e32 v156, v155
	v_add_f32_e32 v117, v19, v117
	v_fmac_f32_e32 v118, 0xbf06c442, v23
	v_mul_f32_e32 v137, 0x3f3d2fb0, v59
	v_add_f32_e32 v15, v18, v15
	v_fmac_f32_e32 v156, 0x3ee437d1, v40
	v_add_f32_e32 v117, v117, v118
	v_mov_b32_e32 v118, v137
	v_add_f32_e32 v15, v15, v156
	v_mul_f32_e32 v156, 0xbf7ee86f, v111
	v_fmac_f32_e32 v118, 0xbf2c7751, v22
	v_mul_f32_e32 v138, 0x3ee437d1, v60
	v_add_f32_e32 v10, v157, v10
	v_mov_b32_e32 v157, v156
	v_add_f32_e32 v117, v117, v118
	v_mov_b32_e32 v118, v138
	v_fmac_f32_e32 v157, 0x3dbcf732, v42
	v_fmac_f32_e32 v118, 0x3f65296c, v21
	v_mul_f32_e32 v139, 0xbf7ba420, v75
	v_add_f32_e32 v15, v15, v157
	v_mul_f32_e32 v157, 0x3f4c4adb, v112
	v_add_f32_e32 v117, v117, v118
	v_mov_b32_e32 v118, v139
	v_mov_b32_e32 v158, v157
	v_fmac_f32_e32 v118, 0x3e3c28d5, v20
	v_mul_f32_e32 v140, 0x3dbcf732, v79
	v_fmac_f32_e32 v158, 0xbf1a4643, v45
	v_add_f32_e32 v117, v117, v118
	v_mov_b32_e32 v118, v140
	v_add_f32_e32 v15, v15, v158
	v_mul_f32_e32 v158, 0xbeb8f4ab, v114
	v_fmac_f32_e32 v118, 0xbf7ee86f, v25
	v_mul_f32_e32 v141, 0x3f6eb680, v82
	v_mov_b32_e32 v159, v158
	v_add_f32_e32 v117, v117, v118
	v_mov_b32_e32 v118, v141
	v_fmac_f32_e32 v159, 0x3f6eb680, v47
	v_fmac_f32_e32 v118, 0x3eb8f4ab, v26
	v_mul_f32_e32 v142, 0xbf763a35, v109
	v_add_f32_e32 v15, v15, v159
	v_mul_f32_e32 v159, 0xbe3c28d5, v115
	v_add_f32_e32 v117, v117, v118
	v_mov_b32_e32 v118, v142
	v_mul_f32_e32 v143, 0x3f06c442, v110
	v_mov_b32_e32 v160, v159
	v_fmac_f32_e32 v118, 0xbe8c1d8e, v39
	v_mov_b32_e32 v144, v143
	v_fmac_f32_e32 v160, 0xbf7ba420, v43
	v_add_f32_e32 v118, v18, v118
	v_fmac_f32_e32 v144, 0xbf59a7d5, v40
	v_add_f32_e32 v15, v15, v160
	v_mul_f32_e32 v160, 0x3f2c7751, v116
	v_add_f32_e32 v118, v118, v144
	v_mul_f32_e32 v144, 0x3f2c7751, v111
	v_mov_b32_e32 v161, v160
	v_mov_b32_e32 v145, v144
	v_fmac_f32_e32 v161, 0x3f3d2fb0, v46
	v_mul_f32_e32 v162, 0xbe8c1d8e, v84
	v_fmac_f32_e32 v145, 0x3f3d2fb0, v42
	v_add_f32_e32 v161, v15, v161
	v_mov_b32_e32 v15, v162
	v_add_f32_e32 v118, v118, v145
	v_mul_f32_e32 v145, 0xbf65296c, v112
	v_fmac_f32_e32 v15, 0x3f763a35, v37
	v_mul_f32_e32 v163, 0xbf763a35, v113
	v_mov_b32_e32 v146, v145
	v_add_f32_e32 v15, v14, v15
	v_mov_b32_e32 v14, v163
	v_fmac_f32_e32 v146, 0x3ee437d1, v45
	v_fmac_f32_e32 v14, 0xbe8c1d8e, v49
	v_add_f32_e32 v118, v118, v146
	v_mul_f32_e32 v146, 0xbe3c28d5, v114
	v_add_f32_e32 v14, v161, v14
	v_mov_b32_e32 v161, v146
	v_fmac_f32_e32 v161, 0xbf7ba420, v47
	v_add_f32_e32 v118, v118, v161
	v_mul_f32_e32 v161, 0x3f7ee86f, v115
	v_mov_b32_e32 v164, v161
	v_fmac_f32_e32 v164, 0x3dbcf732, v43
	v_add_f32_e32 v118, v118, v164
	v_mul_f32_e32 v164, 0xbeb8f4ab, v116
	v_mov_b32_e32 v165, v164
	v_fmac_f32_e32 v165, 0x3f6eb680, v46
	v_mul_f32_e32 v166, 0xbf1a4643, v84
	v_add_f32_e32 v165, v118, v165
	v_mov_b32_e32 v118, v166
	v_fmac_f32_e32 v118, 0x3f4c4adb, v37
	v_mul_f32_e32 v167, 0xbf4c4adb, v113
	v_add_f32_e32 v118, v117, v118
	v_mov_b32_e32 v117, v167
	v_fmac_f32_e32 v117, 0xbf1a4643, v49
	v_add_f32_e32 v117, v165, v117
	v_mul_f32_e32 v165, 0x3dbcf732, v61
	v_mov_b32_e32 v168, v165
	v_mul_f32_e32 v169, 0xbf7ba420, v62
	v_fmac_f32_e32 v168, 0x3f7ee86f, v24
	v_mov_b32_e32 v170, v169
	v_add_f32_e32 v168, v19, v168
	v_fmac_f32_e32 v170, 0x3e3c28d5, v23
	v_add_f32_e32 v30, v18, v30
	v_add_f32_e32 v168, v168, v170
	v_mul_f32_e32 v170, 0xbe8c1d8e, v59
	v_add_f32_e32 v30, v30, v32
	v_mov_b32_e32 v171, v170
	v_add_f32_e32 v51, v51, v19
	v_add_f32_e32 v30, v30, v33
	v_fmac_f32_e32 v171, 0xbf763a35, v22
	v_add_f32_e32 v51, v51, v52
	v_add_f32_e32 v30, v30, v35
	v_add_f32_e32 v168, v168, v171
	v_mul_f32_e32 v171, 0x3f6eb680, v60
	v_add_f32_e32 v51, v51, v53
	v_add_f32_e32 v30, v30, v36
	v_mov_b32_e32 v172, v171
	v_add_f32_e32 v51, v51, v54
	v_add_f32_e32 v30, v30, v56
	v_fmac_f32_e32 v172, 0xbeb8f4ab, v21
	v_add_f32_e32 v51, v51, v58
	v_add_f32_e32 v30, v30, v68
	v_add_f32_e32 v168, v168, v172
	v_mul_f32_e32 v172, 0x3ee437d1, v75
	v_add_f32_e32 v51, v51, v70
	;; [unrolled: 10-line block ×4, first 2 shown]
	v_add_f32_e32 v29, v29, v30
	v_mov_b32_e32 v175, v174
	v_add_f32_e32 v50, v50, v51
	v_add_f32_e32 v28, v28, v29
	v_fmac_f32_e32 v147, 0xbf06c442, v24
	v_fmac_f32_e32 v175, 0xbf4c4adb, v26
	v_add_f32_e32 v44, v44, v50
	v_add_f32_e32 v50, v27, v28
	;; [unrolled: 1-line block ×3, first 2 shown]
	v_fmac_f32_e32 v148, 0x3f65296c, v23
	v_add_f32_e32 v168, v168, v175
	v_mul_f32_e32 v175, 0xbf7ee86f, v109
	v_add_f32_e32 v27, v27, v148
	v_fmac_f32_e32 v149, 0xbf7ee86f, v22
	v_mov_b32_e32 v109, v175
	v_mul_f32_e32 v176, 0xbe3c28d5, v110
	v_add_f32_e32 v27, v27, v149
	v_fmac_f32_e32 v150, 0x3f4c4adb, v21
	v_fmac_f32_e32 v109, 0x3dbcf732, v39
	v_mov_b32_e32 v110, v176
	v_add_f32_e32 v27, v27, v150
	v_fmac_f32_e32 v151, 0xbeb8f4ab, v20
	v_add_f32_e32 v109, v18, v109
	v_fmac_f32_e32 v110, 0xbf7ba420, v40
	v_mul_f32_e32 v177, 0x3f763a35, v111
	v_add_f32_e32 v27, v27, v151
	v_fmac_f32_e32 v152, 0xbe3c28d5, v25
	v_add_f32_e32 v109, v109, v110
	v_mov_b32_e32 v110, v177
	v_add_f32_e32 v27, v27, v152
	v_fmac_f32_e32 v153, 0x3f2c7751, v26
	v_fmac_f32_e32 v110, 0xbe8c1d8e, v42
	v_mul_f32_e32 v178, 0x3eb8f4ab, v112
	v_add_f32_e32 v27, v27, v153
	v_fmac_f32_e32 v162, 0xbf763a35, v37
	v_add_f32_e32 v109, v109, v110
	v_mov_b32_e32 v110, v178
	v_add_f32_e32 v28, v27, v162
	v_fma_f32 v27, v39, s8, -v154
	v_fmac_f32_e32 v110, 0x3f6eb680, v45
	v_mul_f32_e32 v114, 0xbf65296c, v114
	v_add_f32_e32 v27, v18, v27
	v_fma_f32 v29, v40, s4, -v155
	v_add_f32_e32 v109, v109, v110
	v_mov_b32_e32 v110, v114
	v_add_f32_e32 v27, v27, v29
	v_fma_f32 v29, v42, s5, -v156
	v_fmac_f32_e32 v110, 0x3ee437d1, v47
	v_mul_f32_e32 v115, 0xbf06c442, v115
	v_add_f32_e32 v27, v27, v29
	v_fma_f32 v29, v45, s7, -v157
	;; [unrolled: 8-line block ×3, first 2 shown]
	v_add_f32_e32 v109, v109, v110
	v_mov_b32_e32 v110, v116
	v_mul_f32_e32 v113, 0x3f2c7751, v113
	v_add_f32_e32 v27, v27, v29
	v_fma_f32 v29, v46, s1, -v160
	v_fmac_f32_e32 v110, 0xbf1a4643, v46
	v_mov_b32_e32 v111, v113
	v_add_f32_e32 v27, v27, v29
	v_fma_f32 v29, v49, s6, -v163
	v_fmac_f32_e32 v135, 0xbf763a35, v24
	v_add_f32_e32 v109, v109, v110
	v_fmac_f32_e32 v111, 0x3f3d2fb0, v49
	v_add_f32_e32 v27, v27, v29
	v_add_f32_e32 v29, v19, v135
	v_fmac_f32_e32 v136, 0x3f06c442, v23
	v_add_f32_e32 v109, v109, v111
	v_fma_f32 v111, v61, s4, -v119
	v_fma_f32 v94, v61, s1, -v94
	v_add_f32_e32 v29, v29, v136
	v_fmac_f32_e32 v137, 0x3f2c7751, v22
	v_add_f32_e32 v111, v19, v111
	v_fma_f32 v112, v62, s7, -v120
	v_add_f32_e32 v94, v19, v94
	v_fma_f32 v95, v62, s5, -v95
	v_add_f32_e32 v29, v29, v137
	v_fmac_f32_e32 v138, 0xbf65296c, v21
	v_add_f32_e32 v111, v111, v112
	v_fma_f32 v112, v59, s9, -v121
	v_add_f32_e32 v94, v94, v95
	;; [unrolled: 6-line block ×4, first 2 shown]
	v_fma_f32 v95, v75, s8, -v98
	v_fma_f32 v61, v61, s0, -v69
	v_add_f32_e32 v29, v29, v140
	v_fmac_f32_e32 v141, 0xbeb8f4ab, v26
	v_add_f32_e32 v111, v111, v112
	v_fma_f32 v112, v79, s0, -v124
	v_add_f32_e32 v94, v94, v95
	v_fma_f32 v95, v79, s6, -v99
	v_fma_f32 v62, v62, s1, -v67
	v_add_f32_e32 v61, v19, v61
	v_add_f32_e32 v29, v29, v141
	v_fmac_f32_e32 v166, 0xbf4c4adb, v37
	v_add_f32_e32 v111, v111, v112
	v_fma_f32 v112, v82, s5, -v125
	v_fmac_f32_e32 v126, 0x3ee437d1, v39
	v_add_f32_e32 v94, v94, v95
	v_fma_f32 v95, v82, s4, -v100
	v_fmac_f32_e32 v102, 0x3f3d2fb0, v39
	v_add_f32_e32 v61, v61, v62
	v_fma_f32 v59, v59, s4, -v65
	v_fmac_f32_e32 v85, 0x3f6eb680, v39
	v_add_f32_e32 v30, v29, v166
	v_fma_f32 v29, v39, s6, -v142
	v_fmac_f32_e32 v172, 0xbf65296c, v20
	v_fma_f32 v20, v39, s5, -v175
	v_add_f32_e32 v111, v111, v112
	v_add_f32_e32 v112, v18, v126
	;; [unrolled: 1-line block ×7, first 2 shown]
	v_fma_f32 v31, v40, s8, -v143
	v_fmac_f32_e32 v165, 0xbf7ee86f, v24
	v_add_f32_e32 v18, v18, v20
	v_fma_f32 v20, v40, s9, -v176
	v_add_f32_e32 v29, v29, v31
	v_fma_f32 v31, v42, s1, -v144
	v_add_f32_e32 v19, v19, v165
	v_fmac_f32_e32 v169, 0xbe3c28d5, v23
	v_add_f32_e32 v18, v18, v20
	v_fma_f32 v20, v42, s6, -v177
	v_add_f32_e32 v29, v29, v31
	v_fma_f32 v31, v45, s4, -v145
	v_add_f32_e32 v19, v19, v169
	;; [unrolled: 6-line block ×3, first 2 shown]
	v_fmac_f32_e32 v171, 0x3eb8f4ab, v21
	v_add_f32_e32 v18, v18, v20
	v_fma_f32 v20, v47, s4, -v114
	v_fma_f32 v60, v60, s5, -v64
	v_add_f32_e32 v29, v29, v31
	v_fma_f32 v31, v43, s5, -v161
	v_add_f32_e32 v19, v19, v171
	v_add_f32_e32 v18, v18, v20
	v_mad_u64_u32 v[20:21], s[4:5], s2, v48, 0
	v_add_f32_e32 v19, v19, v172
	v_fmac_f32_e32 v173, 0xbf06c442, v25
	v_mul_f32_e32 v179, 0x3f3d2fb0, v84
	v_add_f32_e32 v19, v19, v173
	v_fmac_f32_e32 v174, 0x3f4c4adb, v26
	v_mov_b32_e32 v110, v179
	v_add_f32_e32 v19, v19, v174
	v_fmac_f32_e32 v179, 0x3f2c7751, v37
	v_fma_f32 v22, v43, s8, -v115
	v_add_f32_e32 v19, v19, v179
	v_add_f32_e32 v23, v18, v22
	v_mov_b32_e32 v18, v21
	v_fma_f32 v24, v46, s7, -v116
	v_mad_u64_u32 v[21:22], s[4:5], s3, v48, v[18:19]
	v_add_f32_e32 v18, v23, v24
	v_fma_f32 v22, v49, s1, -v113
	v_add_f32_e32 v18, v18, v22
	v_mov_b32_e32 v22, s13
	v_add_co_u32_e32 v24, vcc, s12, v0
	v_addc_co_u32_e32 v25, vcc, v22, v1, vcc
	v_add_u32_e32 v22, 0x77, v48
	v_fma_f32 v93, v84, s0, -v93
	v_add_f32_e32 v29, v29, v31
	v_fma_f32 v31, v46, s0, -v164
	v_lshlrev_b64 v[0:1], 3, v[20:21]
	v_mad_u64_u32 v[20:21], s[0:1], s2, v22, 0
	v_add_u32_e32 v26, 0xee, v48
	v_fmac_f32_e32 v86, 0x3f3d2fb0, v40
	v_mad_u64_u32 v[21:22], s[0:1], s3, v22, v[21:22]
	v_mad_u64_u32 v[22:23], s[0:1], s2, v26, 0
	v_add_f32_e32 v41, v41, v44
	v_add_co_u32_e32 v0, vcc, v24, v0
	v_add_f32_e32 v61, v61, v86
	v_fmac_f32_e32 v87, 0x3ee437d1, v42
	v_add_f32_e32 v51, v38, v41
	v_addc_co_u32_e32 v1, vcc, v25, v1, vcc
	v_add_f32_e32 v61, v61, v87
	v_fmac_f32_e32 v88, 0x3dbcf732, v45
	global_store_dwordx2 v[0:1], v[50:51], off
	v_lshlrev_b64 v[0:1], 3, v[20:21]
	v_mov_b32_e32 v20, v23
	v_add_f32_e32 v59, v59, v60
	v_fma_f32 v60, v75, s6, -v71
	v_add_f32_e32 v61, v61, v88
	v_fmac_f32_e32 v89, 0xbe8c1d8e, v47
	v_mad_u64_u32 v[20:21], s[0:1], s3, v26, v[20:21]
	v_add_f32_e32 v59, v59, v60
	v_fma_f32 v60, v79, s7, -v77
	v_add_f32_e32 v61, v61, v89
	v_fmac_f32_e32 v90, 0xbf1a4643, v43
	v_add_f32_e32 v59, v59, v60
	v_fma_f32 v60, v82, s8, -v81
	v_add_f32_e32 v61, v61, v90
	v_fmac_f32_e32 v91, 0xbf59a7d5, v46
	;; [unrolled: 4-line block ×3, first 2 shown]
	v_add_co_u32_e32 v0, vcc, v24, v0
	v_add_f32_e32 v60, v59, v60
	v_add_f32_e32 v59, v61, v92
	v_addc_co_u32_e32 v1, vcc, v25, v1, vcc
	v_mov_b32_e32 v23, v20
	global_store_dwordx2 v[0:1], v[59:60], off
	v_lshlrev_b64 v[0:1], 3, v[22:23]
	v_add_u32_e32 v22, 0x165, v48
	v_mad_u64_u32 v[20:21], s[0:1], s2, v22, 0
	v_fmac_f32_e32 v103, 0x3dbcf732, v40
	v_add_f32_e32 v95, v95, v103
	v_fmac_f32_e32 v104, 0xbf1a4643, v42
	v_add_f32_e32 v95, v95, v104
	;; [unrolled: 2-line block ×3, first 2 shown]
	v_fmac_f32_e32 v106, 0xbf59a7d5, v47
	v_mad_u64_u32 v[21:22], s[0:1], s3, v22, v[21:22]
	v_add_u32_e32 v26, 0x1dc, v48
	v_add_f32_e32 v95, v95, v106
	v_fmac_f32_e32 v107, 0xbe8c1d8e, v43
	v_mad_u64_u32 v[22:23], s[0:1], s2, v26, 0
	v_add_f32_e32 v95, v95, v107
	v_fmac_f32_e32 v108, 0x3ee437d1, v46
	v_fmac_f32_e32 v127, 0xbf1a4643, v40
	v_add_f32_e32 v95, v95, v108
	v_fmac_f32_e32 v101, 0x3f6eb680, v49
	v_add_co_u32_e32 v0, vcc, v24, v0
	v_add_f32_e32 v112, v112, v127
	v_fmac_f32_e32 v128, 0xbf7ba420, v42
	v_add_f32_e32 v94, v94, v93
	v_add_f32_e32 v93, v95, v101
	v_addc_co_u32_e32 v1, vcc, v25, v1, vcc
	v_add_f32_e32 v112, v112, v128
	v_fmac_f32_e32 v129, 0xbe8c1d8e, v45
	global_store_dwordx2 v[0:1], v[93:94], off
	v_lshlrev_b64 v[0:1], 3, v[20:21]
	v_mov_b32_e32 v20, v23
	v_add_f32_e32 v112, v112, v129
	v_fmac_f32_e32 v130, 0x3f3d2fb0, v47
	v_mad_u64_u32 v[20:21], s[0:1], s3, v26, v[20:21]
	v_add_f32_e32 v112, v112, v130
	v_fmac_f32_e32 v131, 0x3f6eb680, v43
	v_add_f32_e32 v112, v112, v131
	v_fmac_f32_e32 v132, 0x3dbcf732, v46
	v_add_f32_e32 v119, v112, v132
	v_fma_f32 v112, v84, s8, -v133
	v_fmac_f32_e32 v134, 0xbf59a7d5, v49
	v_add_co_u32_e32 v0, vcc, v24, v0
	v_add_f32_e32 v112, v111, v112
	v_add_f32_e32 v111, v119, v134
	v_addc_co_u32_e32 v1, vcc, v25, v1, vcc
	v_mov_b32_e32 v23, v20
	global_store_dwordx2 v[0:1], v[111:112], off
	v_lshlrev_b64 v[0:1], 3, v[22:23]
	v_add_u32_e32 v22, 0x253, v48
	v_mad_u64_u32 v[20:21], s[0:1], s2, v22, 0
	v_add_u32_e32 v26, 0x2ca, v48
	v_fmac_f32_e32 v110, 0xbf2c7751, v37
	v_mad_u64_u32 v[21:22], s[0:1], s3, v22, v[21:22]
	v_mad_u64_u32 v[22:23], s[0:1], s2, v26, 0
	v_add_co_u32_e32 v0, vcc, v24, v0
	v_add_f32_e32 v110, v168, v110
	v_addc_co_u32_e32 v1, vcc, v25, v1, vcc
	global_store_dwordx2 v[0:1], v[109:110], off
	v_lshlrev_b64 v[0:1], 3, v[20:21]
	v_mov_b32_e32 v20, v23
	v_mad_u64_u32 v[20:21], s[0:1], s3, v26, v[20:21]
	v_add_co_u32_e32 v0, vcc, v24, v0
	v_addc_co_u32_e32 v1, vcc, v25, v1, vcc
	v_mov_b32_e32 v23, v20
	global_store_dwordx2 v[0:1], v[117:118], off
	v_lshlrev_b64 v[0:1], 3, v[22:23]
	v_add_u32_e32 v22, 0x341, v48
	v_mad_u64_u32 v[20:21], s[0:1], s2, v22, 0
	v_add_u32_e32 v26, 0x3b8, v48
	v_add_co_u32_e32 v0, vcc, v24, v0
	v_mad_u64_u32 v[21:22], s[0:1], s3, v22, v[21:22]
	v_mad_u64_u32 v[22:23], s[0:1], s2, v26, 0
	v_addc_co_u32_e32 v1, vcc, v25, v1, vcc
	global_store_dwordx2 v[0:1], v[16:17], off
	v_mov_b32_e32 v16, v23
	v_mad_u64_u32 v[16:17], s[0:1], s3, v26, v[16:17]
	v_lshlrev_b64 v[0:1], 3, v[20:21]
	v_add_u32_e32 v20, 0x4a6, v48
	v_add_co_u32_e32 v0, vcc, v24, v0
	v_addc_co_u32_e32 v1, vcc, v25, v1, vcc
	v_mov_b32_e32 v23, v16
	v_add_u32_e32 v16, 0x42f, v48
	global_store_dwordx2 v[0:1], v[14:15], off
	v_mad_u64_u32 v[14:15], s[0:1], s2, v16, 0
	v_lshlrev_b64 v[0:1], 3, v[22:23]
	v_add_f32_e32 v29, v29, v31
	v_mad_u64_u32 v[15:16], s[0:1], s3, v16, v[15:16]
	v_mad_u64_u32 v[16:17], s[0:1], s2, v20, 0
	v_add_co_u32_e32 v0, vcc, v24, v0
	v_addc_co_u32_e32 v1, vcc, v25, v1, vcc
	global_store_dwordx2 v[0:1], v[12:13], off
	v_mov_b32_e32 v12, v17
	v_mad_u64_u32 v[12:13], s[0:1], s3, v20, v[12:13]
	v_lshlrev_b64 v[0:1], 3, v[14:15]
	v_add_u32_e32 v14, 0x594, v48
	v_add_co_u32_e32 v0, vcc, v24, v0
	v_addc_co_u32_e32 v1, vcc, v25, v1, vcc
	v_mov_b32_e32 v17, v12
	v_add_u32_e32 v12, 0x51d, v48
	global_store_dwordx2 v[0:1], v[10:11], off
	v_mad_u64_u32 v[10:11], s[0:1], s2, v12, 0
	v_lshlrev_b64 v[0:1], 3, v[16:17]
	v_fma_f32 v31, v49, s7, -v167
	v_mad_u64_u32 v[11:12], s[0:1], s3, v12, v[11:12]
	v_mad_u64_u32 v[12:13], s[0:1], s2, v14, 0
	v_add_co_u32_e32 v0, vcc, v24, v0
	v_addc_co_u32_e32 v1, vcc, v25, v1, vcc
	global_store_dwordx2 v[0:1], v[27:28], off
	v_lshlrev_b64 v[0:1], 3, v[10:11]
	v_mov_b32_e32 v10, v13
	v_mad_u64_u32 v[10:11], s[0:1], s3, v14, v[10:11]
	v_add_co_u32_e32 v0, vcc, v24, v0
	v_addc_co_u32_e32 v1, vcc, v25, v1, vcc
	v_mov_b32_e32 v13, v10
	v_add_u32_e32 v10, 0x60b, v48
	global_store_dwordx2 v[0:1], v[8:9], off
	v_mad_u64_u32 v[8:9], s[0:1], s2, v10, 0
	v_lshlrev_b64 v[0:1], 3, v[12:13]
	v_add_u32_e32 v12, 0x682, v48
	v_mad_u64_u32 v[9:10], s[0:1], s3, v10, v[9:10]
	v_mad_u64_u32 v[10:11], s[0:1], s2, v12, 0
	v_add_co_u32_e32 v0, vcc, v24, v0
	v_add_f32_e32 v29, v29, v31
	v_addc_co_u32_e32 v1, vcc, v25, v1, vcc
	global_store_dwordx2 v[0:1], v[29:30], off
	v_lshlrev_b64 v[0:1], 3, v[8:9]
	v_mov_b32_e32 v8, v11
	v_mad_u64_u32 v[8:9], s[0:1], s3, v12, v[8:9]
	v_add_co_u32_e32 v0, vcc, v24, v0
	v_addc_co_u32_e32 v1, vcc, v25, v1, vcc
	v_mov_b32_e32 v11, v8
	global_store_dwordx2 v[0:1], v[18:19], off
	v_lshlrev_b64 v[0:1], 3, v[10:11]
	v_add_u32_e32 v10, 0x6f9, v48
	v_mad_u64_u32 v[8:9], s[0:1], s2, v10, 0
	v_add_u32_e32 v12, 0x770, v48
	v_add_co_u32_e32 v0, vcc, v24, v0
	v_mad_u64_u32 v[9:10], s[0:1], s3, v10, v[9:10]
	v_mad_u64_u32 v[10:11], s[0:1], s2, v12, 0
	v_addc_co_u32_e32 v1, vcc, v25, v1, vcc
	global_store_dwordx2 v[0:1], v[6:7], off
	v_mov_b32_e32 v6, v11
	v_mad_u64_u32 v[6:7], s[0:1], s3, v12, v[6:7]
	v_lshlrev_b64 v[0:1], 3, v[8:9]
	v_add_co_u32_e32 v0, vcc, v24, v0
	v_addc_co_u32_e32 v1, vcc, v25, v1, vcc
	v_mov_b32_e32 v11, v6
	global_store_dwordx2 v[0:1], v[4:5], off
	v_lshlrev_b64 v[0:1], 3, v[10:11]
	v_add_co_u32_e32 v0, vcc, v24, v0
	v_addc_co_u32_e32 v1, vcc, v25, v1, vcc
	global_store_dwordx2 v[0:1], v[2:3], off
.LBB0_23:
	s_endpgm
	.section	.rodata,"a",@progbits
	.p2align	6, 0x0
	.amdhsa_kernel fft_rtc_back_len2023_factors_17_7_17_wgs_119_tpt_119_halfLds_sp_ip_CI_sbrr_dirReg
		.amdhsa_group_segment_fixed_size 0
		.amdhsa_private_segment_fixed_size 0
		.amdhsa_kernarg_size 88
		.amdhsa_user_sgpr_count 6
		.amdhsa_user_sgpr_private_segment_buffer 1
		.amdhsa_user_sgpr_dispatch_ptr 0
		.amdhsa_user_sgpr_queue_ptr 0
		.amdhsa_user_sgpr_kernarg_segment_ptr 1
		.amdhsa_user_sgpr_dispatch_id 0
		.amdhsa_user_sgpr_flat_scratch_init 0
		.amdhsa_user_sgpr_private_segment_size 0
		.amdhsa_uses_dynamic_stack 0
		.amdhsa_system_sgpr_private_segment_wavefront_offset 0
		.amdhsa_system_sgpr_workgroup_id_x 1
		.amdhsa_system_sgpr_workgroup_id_y 0
		.amdhsa_system_sgpr_workgroup_id_z 0
		.amdhsa_system_sgpr_workgroup_info 0
		.amdhsa_system_vgpr_workitem_id 0
		.amdhsa_next_free_vgpr 180
		.amdhsa_next_free_sgpr 24
		.amdhsa_reserve_vcc 1
		.amdhsa_reserve_flat_scratch 0
		.amdhsa_float_round_mode_32 0
		.amdhsa_float_round_mode_16_64 0
		.amdhsa_float_denorm_mode_32 3
		.amdhsa_float_denorm_mode_16_64 3
		.amdhsa_dx10_clamp 1
		.amdhsa_ieee_mode 1
		.amdhsa_fp16_overflow 0
		.amdhsa_exception_fp_ieee_invalid_op 0
		.amdhsa_exception_fp_denorm_src 0
		.amdhsa_exception_fp_ieee_div_zero 0
		.amdhsa_exception_fp_ieee_overflow 0
		.amdhsa_exception_fp_ieee_underflow 0
		.amdhsa_exception_fp_ieee_inexact 0
		.amdhsa_exception_int_div_zero 0
	.end_amdhsa_kernel
	.text
.Lfunc_end0:
	.size	fft_rtc_back_len2023_factors_17_7_17_wgs_119_tpt_119_halfLds_sp_ip_CI_sbrr_dirReg, .Lfunc_end0-fft_rtc_back_len2023_factors_17_7_17_wgs_119_tpt_119_halfLds_sp_ip_CI_sbrr_dirReg
                                        ; -- End function
	.section	.AMDGPU.csdata,"",@progbits
; Kernel info:
; codeLenInByte = 16144
; NumSgprs: 28
; NumVgprs: 180
; ScratchSize: 0
; MemoryBound: 0
; FloatMode: 240
; IeeeMode: 1
; LDSByteSize: 0 bytes/workgroup (compile time only)
; SGPRBlocks: 3
; VGPRBlocks: 44
; NumSGPRsForWavesPerEU: 28
; NumVGPRsForWavesPerEU: 180
; Occupancy: 1
; WaveLimiterHint : 1
; COMPUTE_PGM_RSRC2:SCRATCH_EN: 0
; COMPUTE_PGM_RSRC2:USER_SGPR: 6
; COMPUTE_PGM_RSRC2:TRAP_HANDLER: 0
; COMPUTE_PGM_RSRC2:TGID_X_EN: 1
; COMPUTE_PGM_RSRC2:TGID_Y_EN: 0
; COMPUTE_PGM_RSRC2:TGID_Z_EN: 0
; COMPUTE_PGM_RSRC2:TIDIG_COMP_CNT: 0
	.type	__hip_cuid_99b53f42c52b44f6,@object ; @__hip_cuid_99b53f42c52b44f6
	.section	.bss,"aw",@nobits
	.globl	__hip_cuid_99b53f42c52b44f6
__hip_cuid_99b53f42c52b44f6:
	.byte	0                               ; 0x0
	.size	__hip_cuid_99b53f42c52b44f6, 1

	.ident	"AMD clang version 19.0.0git (https://github.com/RadeonOpenCompute/llvm-project roc-6.4.0 25133 c7fe45cf4b819c5991fe208aaa96edf142730f1d)"
	.section	".note.GNU-stack","",@progbits
	.addrsig
	.addrsig_sym __hip_cuid_99b53f42c52b44f6
	.amdgpu_metadata
---
amdhsa.kernels:
  - .args:
      - .actual_access:  read_only
        .address_space:  global
        .offset:         0
        .size:           8
        .value_kind:     global_buffer
      - .offset:         8
        .size:           8
        .value_kind:     by_value
      - .actual_access:  read_only
        .address_space:  global
        .offset:         16
        .size:           8
        .value_kind:     global_buffer
      - .actual_access:  read_only
        .address_space:  global
        .offset:         24
        .size:           8
        .value_kind:     global_buffer
      - .offset:         32
        .size:           8
        .value_kind:     by_value
      - .actual_access:  read_only
        .address_space:  global
        .offset:         40
        .size:           8
        .value_kind:     global_buffer
      - .actual_access:  read_only
        .address_space:  global
        .offset:         48
        .size:           8
        .value_kind:     global_buffer
      - .offset:         56
        .size:           4
        .value_kind:     by_value
      - .actual_access:  read_only
        .address_space:  global
        .offset:         64
        .size:           8
        .value_kind:     global_buffer
      - .actual_access:  read_only
        .address_space:  global
        .offset:         72
        .size:           8
        .value_kind:     global_buffer
      - .address_space:  global
        .offset:         80
        .size:           8
        .value_kind:     global_buffer
    .group_segment_fixed_size: 0
    .kernarg_segment_align: 8
    .kernarg_segment_size: 88
    .language:       OpenCL C
    .language_version:
      - 2
      - 0
    .max_flat_workgroup_size: 119
    .name:           fft_rtc_back_len2023_factors_17_7_17_wgs_119_tpt_119_halfLds_sp_ip_CI_sbrr_dirReg
    .private_segment_fixed_size: 0
    .sgpr_count:     28
    .sgpr_spill_count: 0
    .symbol:         fft_rtc_back_len2023_factors_17_7_17_wgs_119_tpt_119_halfLds_sp_ip_CI_sbrr_dirReg.kd
    .uniform_work_group_size: 1
    .uses_dynamic_stack: false
    .vgpr_count:     180
    .vgpr_spill_count: 0
    .wavefront_size: 64
amdhsa.target:   amdgcn-amd-amdhsa--gfx906
amdhsa.version:
  - 1
  - 2
...

	.end_amdgpu_metadata
